;; amdgpu-corpus repo=ROCm/rocFFT kind=compiled arch=gfx1030 opt=O3
	.text
	.amdgcn_target "amdgcn-amd-amdhsa--gfx1030"
	.amdhsa_code_object_version 6
	.protected	bluestein_single_back_len850_dim1_sp_op_CI_CI ; -- Begin function bluestein_single_back_len850_dim1_sp_op_CI_CI
	.globl	bluestein_single_back_len850_dim1_sp_op_CI_CI
	.p2align	8
	.type	bluestein_single_back_len850_dim1_sp_op_CI_CI,@function
bluestein_single_back_len850_dim1_sp_op_CI_CI: ; @bluestein_single_back_len850_dim1_sp_op_CI_CI
; %bb.0:
	s_load_dwordx4 s[12:15], s[4:5], 0x28
	v_mul_u32_u24_e32 v1, 0x304, v0
	s_mov_b64 s[22:23], s[2:3]
	s_mov_b64 s[20:21], s[0:1]
	v_mov_b32_e32 v5, 0
	s_add_u32 s20, s20, s7
	v_lshrrev_b32_e32 v1, 16, v1
	s_addc_u32 s21, s21, 0
	s_mov_b32 s0, exec_lo
	v_add_nc_u32_e32 v4, s6, v1
	s_waitcnt lgkmcnt(0)
	v_cmpx_gt_u64_e64 s[12:13], v[4:5]
	s_cbranch_execz .LBB0_10
; %bb.1:
	s_clause 0x1
	s_load_dwordx4 s[8:11], s[4:5], 0x18
	s_load_dwordx4 s[0:3], s[4:5], 0x0
	v_mul_lo_u16 v1, 0x55, v1
	v_mov_b32_e32 v5, v4
	s_load_dwordx2 s[4:5], s[4:5], 0x38
                                        ; implicit-def: $vgpr101
                                        ; implicit-def: $vgpr76
	v_sub_nc_u16 v20, v0, v1
	v_and_b32_e32 v80, 0xffff, v20
	v_add_nc_u16 v28, v20, 0x55
	v_lshlrev_b32_e32 v103, 3, v80
	s_waitcnt lgkmcnt(0)
	s_load_dwordx4 s[16:19], s[8:9], 0x0
	buffer_store_dword v5, off, s[20:23], 0 ; 4-byte Folded Spill
	buffer_store_dword v6, off, s[20:23], 0 offset:4 ; 4-byte Folded Spill
	v_add_co_u32 v105, s6, s0, v103
	v_add_co_ci_u32_e64 v106, null, s1, 0, s6
	s_clause 0x3
	global_load_dwordx2 v[83:84], v103, s[0:1]
	global_load_dwordx2 v[87:88], v103, s[0:1] offset:680
	global_load_dwordx2 v[85:86], v103, s[0:1] offset:1360
	;; [unrolled: 1-line block ×3, first 2 shown]
	s_waitcnt lgkmcnt(0)
	v_mad_u64_u32 v[0:1], null, s18, v4, 0
	v_mad_u64_u32 v[2:3], null, s16, v80, 0
	s_mul_i32 s0, s17, 0x2a8
	s_mul_hi_u32 s1, s16, 0x2a8
	s_mul_i32 s6, s16, 0x2a8
	s_add_i32 s1, s1, s0
	v_mad_u64_u32 v[4:5], null, s19, v4, v[1:2]
	v_mad_u64_u32 v[5:6], null, s17, v80, v[3:4]
	v_mov_b32_e32 v1, v4
	v_add_co_u32 v6, vcc_lo, 0x800, v105
	v_add_co_ci_u32_e32 v7, vcc_lo, 0, v106, vcc_lo
	v_lshlrev_b64 v[0:1], 3, v[0:1]
	v_mov_b32_e32 v3, v5
	v_add_co_u32 v18, vcc_lo, 0x1000, v105
	v_add_co_ci_u32_e32 v19, vcc_lo, 0, v106, vcc_lo
	v_lshlrev_b64 v[2:3], 3, v[2:3]
	v_add_co_u32 v0, vcc_lo, s14, v0
	v_add_co_ci_u32_e32 v1, vcc_lo, s15, v1, vcc_lo
	s_clause 0x2
	global_load_dwordx2 v[95:96], v[6:7], off offset:672
	global_load_dwordx2 v[91:92], v[6:7], off offset:1352
	global_load_dwordx2 v[89:90], v[6:7], off offset:2032
	v_add_co_u32 v0, vcc_lo, v0, v2
	v_add_co_ci_u32_e32 v1, vcc_lo, v1, v3, vcc_lo
	global_load_dwordx2 v[81:82], v[18:19], off offset:664
	v_add_co_u32 v2, vcc_lo, v0, s6
	v_add_co_ci_u32_e32 v3, vcc_lo, s1, v1, vcc_lo
	global_load_dwordx2 v[12:13], v[0:1], off
	v_add_co_u32 v4, vcc_lo, v2, s6
	v_add_co_ci_u32_e32 v5, vcc_lo, s1, v3, vcc_lo
	v_add_co_u32 v6, vcc_lo, v4, s6
	v_add_co_ci_u32_e32 v7, vcc_lo, s1, v5, vcc_lo
	s_clause 0x2
	global_load_dwordx2 v[14:15], v[2:3], off
	global_load_dwordx2 v[8:9], v[4:5], off
	;; [unrolled: 1-line block ×3, first 2 shown]
	v_add_co_u32 v0, vcc_lo, v6, s6
	v_add_co_ci_u32_e32 v1, vcc_lo, s1, v7, vcc_lo
	v_add_co_u32 v2, vcc_lo, v0, s6
	v_add_co_ci_u32_e32 v3, vcc_lo, s1, v1, vcc_lo
	global_load_dwordx2 v[6:7], v[0:1], off
	v_add_co_u32 v10, vcc_lo, v2, s6
	v_add_co_ci_u32_e32 v11, vcc_lo, s1, v3, vcc_lo
	global_load_dwordx2 v[0:1], v[2:3], off
	v_add_co_u32 v16, vcc_lo, v10, s6
	v_add_co_ci_u32_e32 v17, vcc_lo, s1, v11, vcc_lo
	global_load_dwordx2 v[2:3], v[10:11], off
	v_add_co_u32 v21, vcc_lo, v16, s6
	v_add_co_ci_u32_e32 v22, vcc_lo, s1, v17, vcc_lo
	global_load_dwordx2 v[10:11], v[16:17], off
	v_add_co_u32 v23, vcc_lo, v21, s6
	v_add_co_ci_u32_e32 v24, vcc_lo, s1, v22, vcc_lo
	global_load_dwordx2 v[16:17], v[21:22], off
	s_clause 0x1
	global_load_dwordx2 v[97:98], v[18:19], off offset:1344
	global_load_dwordx2 v[99:100], v[18:19], off offset:2024
	global_load_dwordx2 v[18:19], v[23:24], off
	v_and_b32_e32 v21, 0xff, v20
	v_and_b32_e32 v22, 0xff, v28
	v_add_nc_u32_e32 v23, 0x800, v103
	s_load_dwordx4 s[8:11], s[10:11], 0x0
	v_cmp_gt_u16_e32 vcc_lo, 50, v20
	v_mul_lo_u16 v21, 0xcd, v21
	v_mul_lo_u16 v22, 0xcd, v22
	v_lshrrev_b16 v36, 11, v21
	v_add_nc_u32_e32 v21, 0x1000, v103
	v_lshrrev_b16 v37, 11, v22
	v_add_nc_u32_e32 v22, 0xc00, v103
	v_mul_lo_u16 v29, v36, 10
	v_mul_lo_u16 v30, v37, 10
	s_waitcnt vmcnt(11)
	v_mul_f32_e32 v24, v13, v84
	v_mul_f32_e32 v25, v12, v84
	v_fmac_f32_e32 v24, v12, v83
	v_fma_f32 v25, v13, v83, -v25
	s_waitcnt vmcnt(10)
	v_mul_f32_e32 v27, v14, v88
	s_waitcnt vmcnt(9)
	v_mul_f32_e32 v12, v9, v86
	v_mul_f32_e32 v26, v15, v88
	v_mul_f32_e32 v13, v8, v86
	v_fma_f32 v27, v15, v87, -v27
	v_fmac_f32_e32 v12, v8, v85
	s_waitcnt vmcnt(8)
	v_mul_f32_e32 v8, v5, v94
	v_mul_f32_e32 v15, v4, v94
	v_fmac_f32_e32 v26, v14, v87
	v_fma_f32 v13, v9, v85, -v13
	s_waitcnt vmcnt(7)
	v_mul_f32_e32 v14, v7, v96
	v_mul_f32_e32 v31, v6, v96
	v_fmac_f32_e32 v8, v4, v93
	v_fma_f32 v9, v5, v93, -v15
	;; [unrolled: 5-line block ×5, first 2 shown]
	s_waitcnt vmcnt(2)
	v_mul_f32_e32 v2, v17, v98
	v_fmac_f32_e32 v0, v10, v81
	v_mul_f32_e32 v3, v16, v98
	s_waitcnt vmcnt(0)
	v_mul_f32_e32 v10, v19, v100
	v_mul_f32_e32 v31, v18, v100
	v_fma_f32 v1, v11, v81, -v1
	v_fmac_f32_e32 v2, v16, v97
	v_fma_f32 v3, v17, v97, -v3
	v_fmac_f32_e32 v10, v18, v99
	v_fma_f32 v11, v19, v99, -v31
	ds_write2_b64 v103, v[24:25], v[26:27] offset1:85
	ds_write2_b64 v103, v[12:13], v[8:9] offset0:170 offset1:255
	ds_write2_b64 v23, v[14:15], v[4:5] offset0:84 offset1:169
	;; [unrolled: 1-line block ×4, first 2 shown]
	s_waitcnt lgkmcnt(0)
	s_waitcnt_vscnt null, 0x0
	s_barrier
	buffer_gl0_inv
	ds_read2_b64 v[0:3], v103 offset1:85
	ds_read2_b64 v[4:7], v103 offset0:170 offset1:255
	ds_read2_b64 v[8:11], v23 offset0:84 offset1:169
	;; [unrolled: 1-line block ×4, first 2 shown]
	v_sub_nc_u16 v17, v28, v30
	v_sub_nc_u16 v16, v20, v29
	v_mov_b32_e32 v18, 3
	v_mul_lo_u16 v19, v20, 10
	s_waitcnt lgkmcnt(0)
	v_and_b32_e32 v17, 0xff, v17
	v_and_b32_e32 v16, 0xff, v16
	s_barrier
	v_lshlrev_b32_sdwa v107, v18, v19 dst_sel:DWORD dst_unused:UNUSED_PAD src0_sel:DWORD src1_sel:WORD_0
	buffer_gl0_inv
	v_lshlrev_b32_e32 v19, 5, v17
	v_lshlrev_b32_e32 v18, 5, v16
	v_add_f32_e32 v33, v1, v5
	v_add_f32_e32 v40, v2, v6
	;; [unrolled: 1-line block ×5, first 2 shown]
	v_sub_f32_e32 v48, v7, v11
	v_sub_f32_e32 v49, v11, v7
	;; [unrolled: 1-line block ×3, first 2 shown]
	v_add_f32_e32 v53, v6, v26
	v_add_f32_e32 v7, v7, v27
	;; [unrolled: 1-line block ×3, first 2 shown]
	v_sub_f32_e32 v30, v9, v13
	v_add_f32_e32 v34, v9, v13
	v_sub_f32_e32 v38, v5, v9
	v_sub_f32_e32 v39, v9, v5
	;; [unrolled: 1-line block ×7, first 2 shown]
	v_add_f32_e32 v5, v5, v25
	v_add_f32_e32 v9, v33, v9
	;; [unrolled: 1-line block ×4, first 2 shown]
	v_fma_f32 v33, -0.5, v46, v3
	v_fmac_f32_e32 v3, -0.5, v7
	v_fma_f32 v42, -0.5, v53, v2
	v_fma_f32 v2, -0.5, v41, v2
	v_add_f32_e32 v29, v8, v12
	v_sub_f32_e32 v6, v6, v26
	v_sub_f32_e32 v31, v4, v8
	;; [unrolled: 1-line block ×4, first 2 shown]
	v_add_f32_e32 v51, v4, v24
	v_sub_f32_e32 v54, v24, v12
	v_sub_f32_e32 v55, v12, v24
	;; [unrolled: 1-line block ×7, first 2 shown]
	v_add_f32_e32 v8, v28, v8
	v_fma_f32 v34, -0.5, v34, v1
	v_fma_f32 v46, -0.5, v5, v1
	v_add_f32_e32 v1, v9, v13
	v_add_f32_e32 v7, v10, v14
	v_fmamk_f32 v9, v43, 0xbf737871, v42
	v_fmac_f32_e32 v42, 0x3f737871, v43
	v_fmamk_f32 v10, v47, 0x3f737871, v3
	v_fmamk_f32 v13, v52, 0x3f737871, v2
	v_fma_f32 v29, -0.5, v29, v0
	v_fmac_f32_e32 v3, 0xbf737871, v47
	v_fmac_f32_e32 v2, 0xbf737871, v52
	v_sub_f32_e32 v60, v27, v15
	v_fmamk_f32 v14, v6, 0xbf737871, v33
	v_fmac_f32_e32 v33, 0x3f737871, v6
	v_sub_f32_e32 v4, v4, v24
	v_add_f32_e32 v28, v45, v59
	v_add_f32_e32 v40, v49, v61
	v_fma_f32 v45, -0.5, v51, v0
	v_add_f32_e32 v5, v31, v54
	v_add_f32_e32 v31, v32, v55
	v_add_f32_e32 v32, v44, v58
	v_add_f32_e32 v0, v8, v12
	v_add_f32_e32 v8, v11, v15
	v_fmac_f32_e32 v42, 0xbf167918, v52
	v_fmac_f32_e32 v13, 0x3f167918, v43
	;; [unrolled: 1-line block ×3, first 2 shown]
	v_fmamk_f32 v11, v50, 0x3f737871, v29
	v_fmac_f32_e32 v29, 0xbf737871, v50
	v_fmac_f32_e32 v3, 0x3f167918, v6
	;; [unrolled: 1-line block ×4, first 2 shown]
	v_add_f32_e32 v41, v48, v60
	v_fmac_f32_e32 v33, 0x3f167918, v47
	v_fmamk_f32 v12, v30, 0xbf737871, v45
	v_fmac_f32_e32 v45, 0x3f737871, v30
	v_fmamk_f32 v15, v4, 0xbf737871, v34
	v_fmamk_f32 v44, v35, 0x3f737871, v46
	v_fmac_f32_e32 v46, 0xbf737871, v35
	v_add_f32_e32 v24, v0, v24
	v_add_f32_e32 v25, v1, v25
	v_add_f32_e32 v7, v7, v26
	v_add_f32_e32 v8, v8, v27
	v_fmac_f32_e32 v14, 0xbf167918, v47
	v_fmac_f32_e32 v42, 0x3e9e377a, v28
	;; [unrolled: 1-line block ×11, first 2 shown]
	v_add_f32_e32 v38, v38, v56
	v_fmac_f32_e32 v12, 0x3f167918, v50
	v_fmac_f32_e32 v45, 0xbf167918, v50
	;; [unrolled: 1-line block ×5, first 2 shown]
	v_add_f32_e32 v0, v24, v7
	v_add_f32_e32 v1, v25, v8
	v_sub_f32_e32 v6, v24, v7
	v_sub_f32_e32 v7, v25, v8
	v_fmac_f32_e32 v14, 0x3e9e377a, v41
	v_mul_f32_e32 v4, 0x3e9e377a, v42
	v_mul_f32_e32 v8, 0x3f4f1bbd, v13
	;; [unrolled: 1-line block ×4, first 2 shown]
	v_add_f32_e32 v39, v39, v57
	v_fmac_f32_e32 v11, 0x3e9e377a, v5
	v_fmac_f32_e32 v29, 0x3e9e377a, v5
	v_mul_f32_e32 v5, 0x3e9e377a, v3
	v_mul_f32_e32 v25, 0x3f4f1bbd, v2
	;; [unrolled: 1-line block ×3, first 2 shown]
	v_fmac_f32_e32 v34, 0x3f167918, v35
	v_mul_f32_e32 v26, 0x3f4f1bbd, v33
	v_fmac_f32_e32 v12, 0x3e9e377a, v31
	v_fmac_f32_e32 v45, 0x3e9e377a, v31
	;; [unrolled: 1-line block ×3, first 2 shown]
	v_fma_f32 v3, 0x3f737871, v3, -v4
	v_fmac_f32_e32 v8, 0x3f167918, v14
	v_fmac_f32_e32 v24, 0x3e9e377a, v9
	;; [unrolled: 1-line block ×5, first 2 shown]
	v_fma_f32 v9, 0x3f167918, v33, -v25
	v_fmac_f32_e32 v27, 0x3e9e377a, v10
	v_fma_f32 v25, 0xbf737871, v42, -v5
	v_fmac_f32_e32 v34, 0x3e9e377a, v38
	v_fma_f32 v28, 0xbf167918, v2, -v26
	v_add_f32_e32 v2, v11, v8
	v_sub_f32_e32 v10, v12, v24
	v_add_f32_e32 v12, v12, v24
	v_add_f32_e32 v14, v45, v3
	v_sub_f32_e32 v24, v45, v3
	v_add_f32_e32 v3, v15, v13
	v_add_f32_e32 v4, v29, v9
	v_sub_f32_e32 v26, v29, v9
	v_sub_f32_e32 v9, v15, v13
	v_add_f32_e32 v13, v44, v27
	v_add_f32_e32 v15, v46, v25
	;; [unrolled: 1-line block ×3, first 2 shown]
	v_sub_f32_e32 v8, v11, v8
	v_sub_f32_e32 v11, v44, v27
	;; [unrolled: 1-line block ×4, first 2 shown]
	ds_write_b128 v107, v[0:3]
	ds_write_b128 v107, v[12:15] offset:16
	ds_write_b128 v107, v[4:7] offset:32
	;; [unrolled: 1-line block ×4, first 2 shown]
	s_waitcnt lgkmcnt(0)
	s_barrier
	buffer_gl0_inv
	s_clause 0x3
	global_load_dwordx4 v[8:11], v18, s[2:3]
	global_load_dwordx4 v[0:3], v19, s[2:3]
	global_load_dwordx4 v[4:7], v18, s[2:3] offset:16
	global_load_dwordx4 v[12:15], v19, s[2:3] offset:16
	v_mov_b32_e32 v18, 50
	ds_read2_b64 v[24:27], v103 offset0:170 offset1:255
	ds_read2_b64 v[28:31], v23 offset0:84 offset1:169
	;; [unrolled: 1-line block ×3, first 2 shown]
	ds_read2_b64 v[46:49], v103 offset1:85
	v_mul_u32_u24_sdwa v19, v36, v18 dst_sel:DWORD dst_unused:UNUSED_PAD src0_sel:WORD_0 src1_sel:DWORD
	v_mul_u32_u24_sdwa v18, v37, v18 dst_sel:DWORD dst_unused:UNUSED_PAD src0_sel:WORD_0 src1_sel:DWORD
	ds_read2_b64 v[36:39], v21 offset0:168 offset1:253
	s_waitcnt vmcnt(0) lgkmcnt(0)
	s_barrier
	v_add_lshl_u32 v109, v19, v16, 3
	v_add_lshl_u32 v108, v18, v17, 3
	buffer_gl0_inv
	v_mul_f32_e32 v16, v25, v9
	v_mul_f32_e32 v17, v24, v9
	;; [unrolled: 1-line block ×16, first 2 shown]
	v_fma_f32 v16, v24, v8, -v16
	v_fmac_f32_e32 v17, v25, v8
	v_fma_f32 v18, v26, v0, -v18
	v_fmac_f32_e32 v19, v27, v0
	;; [unrolled: 2-line block ×8, first 2 shown]
	v_add_f32_e32 v29, v46, v16
	v_add_f32_e32 v30, v47, v17
	;; [unrolled: 1-line block ×3, first 2 shown]
	v_sub_f32_e32 v32, v16, v20
	v_sub_f32_e32 v33, v20, v16
	;; [unrolled: 1-line block ×4, first 2 shown]
	v_add_f32_e32 v37, v16, v27
	v_add_f32_e32 v39, v40, v44
	v_sub_f32_e32 v41, v17, v40
	v_sub_f32_e32 v43, v40, v17
	;; [unrolled: 1-line block ×3, first 2 shown]
	v_add_f32_e32 v17, v17, v58
	v_sub_f32_e32 v50, v58, v44
	v_sub_f32_e32 v51, v44, v58
	v_add_f32_e32 v53, v48, v18
	v_add_f32_e32 v54, v49, v19
	;; [unrolled: 1-line block ×5, first 2 shown]
	v_sub_f32_e32 v67, v19, v42
	v_sub_f32_e32 v70, v42, v19
	;; [unrolled: 1-line block ×3, first 2 shown]
	v_add_f32_e32 v19, v19, v59
	v_sub_f32_e32 v34, v20, v25
	v_sub_f32_e32 v16, v16, v27
	;; [unrolled: 1-line block ×11, first 2 shown]
	v_add_f32_e32 v20, v29, v20
	v_add_f32_e32 v29, v30, v40
	;; [unrolled: 1-line block ×4, first 2 shown]
	v_fma_f32 v56, -0.5, v31, v46
	v_add_f32_e32 v31, v32, v35
	v_add_f32_e32 v32, v33, v36
	v_fma_f32 v57, -0.5, v39, v47
	v_add_f32_e32 v33, v41, v50
	v_fma_f32 v54, -0.5, v37, v46
	v_fma_f32 v55, -0.5, v17, v47
	v_add_f32_e32 v17, v43, v51
	v_fma_f32 v50, -0.5, v60, v48
	v_fma_f32 v48, -0.5, v65, v48
	;; [unrolled: 1-line block ×3, first 2 shown]
	v_fmac_f32_e32 v49, -0.5, v19
	v_sub_f32_e32 v73, v52, v59
	v_add_f32_e32 v35, v61, v63
	v_add_f32_e32 v36, v62, v64
	;; [unrolled: 1-line block ×5, first 2 shown]
	v_fmamk_f32 v62, v45, 0x3f737871, v56
	v_fmac_f32_e32 v56, 0xbf737871, v45
	v_fmamk_f32 v52, v38, 0xbf737871, v54
	v_fmac_f32_e32 v54, 0x3f737871, v38
	;; [unrolled: 2-line block ×8, first 2 shown]
	v_add_f32_e32 v19, v70, v73
	v_add_f32_e32 v20, v20, v25
	;; [unrolled: 1-line block ×3, first 2 shown]
	v_fmac_f32_e32 v62, 0x3f167918, v38
	v_fmac_f32_e32 v56, 0xbf167918, v38
	v_fmac_f32_e32 v52, 0x3f167918, v45
	v_fmac_f32_e32 v54, 0xbf167918, v45
	v_fmac_f32_e32 v63, 0xbf167918, v34
	v_fmac_f32_e32 v57, 0x3f167918, v34
	v_fmac_f32_e32 v53, 0xbf167918, v16
	v_fmac_f32_e32 v55, 0x3f167918, v16
	v_fmac_f32_e32 v64, 0x3f167918, v69
	v_fmac_f32_e32 v50, 0xbf167918, v69
	v_fmac_f32_e32 v66, 0x3f167918, v71
	v_fmac_f32_e32 v48, 0xbf167918, v71
	v_fmac_f32_e32 v65, 0xbf167918, v68
	v_fmac_f32_e32 v51, 0x3f167918, v68
	v_fmac_f32_e32 v67, 0xbf167918, v18
	v_fmac_f32_e32 v49, 0x3f167918, v18
	v_add_f32_e32 v60, v20, v27
	v_add_f32_e32 v61, v25, v58
	;; [unrolled: 1-line block ×4, first 2 shown]
	v_fmac_f32_e32 v62, 0x3e9e377a, v31
	v_fmac_f32_e32 v56, 0x3e9e377a, v31
	;; [unrolled: 1-line block ×16, first 2 shown]
	ds_write2_b64 v109, v[60:61], v[62:63] offset1:10
	ds_write2_b64 v109, v[52:53], v[54:55] offset0:20 offset1:30
	ds_write_b64 v109, v[56:57] offset:320
	ds_write2_b64 v108, v[58:59], v[64:65] offset1:10
	ds_write2_b64 v108, v[66:67], v[48:49] offset0:20 offset1:30
	ds_write_b64 v108, v[50:51] offset:320
	s_waitcnt lgkmcnt(0)
	s_barrier
	buffer_gl0_inv
                                        ; implicit-def: $vgpr72
                                        ; implicit-def: $vgpr68
	s_and_saveexec_b32 s0, vcc_lo
	s_cbranch_execz .LBB0_3
; %bb.2:
	ds_read2_b64 v[60:63], v103 offset1:50
	ds_read2_b64 v[52:55], v103 offset0:100 offset1:150
	ds_read2_b64 v[48:51], v23 offset0:144 offset1:194
	;; [unrolled: 1-line block ×7, first 2 shown]
	ds_read_b64 v[101:102], v103 offset:6400
.LBB0_3:
	s_or_b32 exec_lo, exec_lo, s0
	v_lshlrev_b32_e32 v16, 4, v80
	buffer_store_dword v80, off, s[20:23], 0 offset:8 ; 4-byte Folded Spill
	v_add_co_u32 v17, s0, 0xfffffce0, v16
	v_add_co_ci_u32_e64 v18, null, 0, -1, s0
	v_cndmask_b32_e32 v16, v17, v16, vcc_lo
	v_cndmask_b32_e64 v17, v18, 0, vcc_lo
	v_lshlrev_b64 v[16:17], 3, v[16:17]
	v_add_co_u32 v44, s0, s2, v16
	v_add_co_ci_u32_e64 v45, s0, s3, v17, s0
	s_clause 0x7
	global_load_dwordx4 v[28:31], v[44:45], off offset:320
	global_load_dwordx4 v[20:23], v[44:45], off offset:336
	;; [unrolled: 1-line block ×8, first 2 shown]
	s_waitcnt vmcnt(7) lgkmcnt(7)
	v_mul_f32_e32 v104, v53, v31
	v_mul_f32_e32 v128, v52, v31
	s_waitcnt vmcnt(6)
	v_mul_f32_e32 v125, v54, v21
	v_mul_f32_e32 v110, v55, v21
	s_waitcnt vmcnt(4) lgkmcnt(6)
	v_mul_f32_e32 v120, v48, v19
	v_fma_f32 v176, v52, v30, -v104
	s_waitcnt lgkmcnt(5)
	v_mul_f32_e32 v52, v59, v33
	v_fmac_f32_e32 v128, v53, v30
	v_fmac_f32_e32 v125, v55, v20
	s_waitcnt lgkmcnt(4)
	v_mul_f32_e32 v53, v65, v35
	v_fma_f32 v112, v54, v20, -v110
	v_fma_f32 v114, v58, v32, -v52
	v_mul_f32_e32 v52, v67, v17
	v_mul_f32_e32 v124, v64, v35
	;; [unrolled: 1-line block ×4, first 2 shown]
	v_fma_f32 v215, v64, v34, -v53
	v_fma_f32 v55, v66, v16, -v52
	s_waitcnt vmcnt(3)
	v_mul_f32_e32 v52, v51, v25
	v_mul_f32_e32 v113, v50, v25
	v_fmac_f32_e32 v120, v49, v18
	s_waitcnt vmcnt(2) lgkmcnt(2)
	v_mul_f32_e32 v49, v73, v39
	s_waitcnt vmcnt(0) lgkmcnt(0)
	v_mul_f32_e32 v64, v101, v47
	v_fma_f32 v118, v50, v24, -v52
	v_mul_f32_e32 v50, v75, v41
	v_mul_f32_e32 v143, v62, v29
	;; [unrolled: 1-line block ×3, first 2 shown]
	v_fmac_f32_e32 v117, v67, v16
	v_mul_f32_e32 v53, v77, v27
	v_fma_f32 v54, v48, v18, -v54
	v_mul_f32_e32 v48, v79, v37
	v_mul_f32_e32 v67, v72, v39
	;; [unrolled: 1-line block ×3, first 2 shown]
	v_fma_f32 v72, v72, v38, -v49
	v_fma_f32 v224, v74, v40, -v50
	v_mul_f32_e32 v49, v102, v47
	v_mul_f32_e32 v50, v63, v29
	v_fmac_f32_e32 v64, v102, v46
	v_fmac_f32_e32 v143, v63, v28
	v_mul_f32_e32 v74, v70, v45
	v_fma_f32 v119, v56, v22, -v111
	v_mul_f32_e32 v111, v76, v27
	v_fma_f32 v52, v76, v26, -v53
	v_fma_f32 v115, v78, v36, -v48
	v_mul_f32_e32 v48, v71, v45
	v_fma_f32 v154, v101, v46, -v49
	v_fma_f32 v76, v62, v28, -v50
	v_sub_f32_e32 v149, v143, v64
	v_fmac_f32_e32 v74, v71, v44
	v_fma_f32 v167, v70, v44, -v48
	v_fmac_f32_e32 v124, v65, v34
	v_add_f32_e32 v148, v76, v154
	v_mul_f32_e32 v184, 0xbeb8f4ab, v149
	v_sub_f32_e32 v164, v128, v74
	v_mul_f32_e32 v65, v68, v43
	v_add_f32_e32 v70, v176, v167
	v_sub_f32_e32 v186, v76, v154
	v_fmamk_f32 v48, v148, 0x3f6eb680, v184
	v_mul_f32_e32 v49, 0xbf2c7751, v164
	v_fmac_f32_e32 v113, v51, v24
	v_mul_f32_e32 v51, v69, v43
	v_fmac_f32_e32 v65, v69, v42
	v_add_f32_e32 v48, v60, v48
	buffer_store_dword v49, off, s[20:23], 0 offset:12 ; 4-byte Folded Spill
	v_fmamk_f32 v49, v70, 0x3f3d2fb0, v49
	v_add_f32_e32 v171, v143, v64
	v_mul_f32_e32 v195, 0xbeb8f4ab, v186
	v_sub_f32_e32 v170, v176, v167
	v_fmac_f32_e32 v66, v75, v40
	v_fma_f32 v153, v68, v42, -v51
	v_add_f32_e32 v48, v49, v48
	v_fma_f32 v49, 0x3f6eb680, v171, -v195
	v_add_f32_e32 v75, v128, v74
	v_mul_f32_e32 v50, 0xbf2c7751, v170
	v_sub_f32_e32 v169, v125, v65
	v_add_f32_e32 v71, v112, v153
	v_add_f32_e32 v49, v61, v49
	v_mul_f32_e32 v127, v56, v23
	buffer_store_dword v50, off, s[20:23], 0 offset:16 ; 4-byte Folded Spill
	v_fma_f32 v50, 0x3f3d2fb0, v75, -v50
	v_mul_f32_e32 v152, 0xbf65296c, v169
	v_mul_f32_e32 v110, v78, v37
	v_sub_f32_e32 v173, v112, v153
	v_fmac_f32_e32 v127, v57, v22
	v_add_f32_e32 v49, v50, v49
	v_fmamk_f32 v50, v71, 0x3ee437d1, v152
	v_fmac_f32_e32 v110, v79, v36
	v_add_f32_e32 v79, v125, v65
	v_sub_f32_e32 v172, v127, v66
	v_mul_f32_e32 v122, v58, v33
	v_add_f32_e32 v48, v50, v48
	v_mul_f32_e32 v50, 0xbf65296c, v173
	v_add_f32_e32 v78, v119, v224
	v_fmac_f32_e32 v67, v73, v38
	v_fmac_f32_e32 v122, v59, v32
	v_sub_f32_e32 v174, v119, v224
	buffer_store_dword v50, off, s[20:23], 0 offset:20 ; 4-byte Folded Spill
	v_fma_f32 v50, 0x3ee437d1, v79, -v50
	v_add_f32_e32 v101, v127, v66
	v_sub_f32_e32 v175, v122, v67
	v_add_f32_e32 v129, v114, v72
	v_sub_f32_e32 v181, v114, v72
	v_add_f32_e32 v49, v50, v49
	v_mul_f32_e32 v50, 0xbf7ee86f, v172
	v_mul_f32_e32 v157, 0xbf763a35, v175
	v_add_f32_e32 v130, v122, v67
	v_sub_f32_e32 v189, v124, v110
	v_add_f32_e32 v133, v215, v115
	buffer_store_dword v50, off, s[20:23], 0 offset:28 ; 4-byte Folded Spill
	v_fmamk_f32 v50, v78, 0x3dbcf732, v50
	v_fmac_f32_e32 v111, v77, v26
	v_sub_f32_e32 v194, v215, v115
	v_add_f32_e32 v134, v124, v110
	v_add_f32_e32 v138, v55, v52
	;; [unrolled: 1-line block ×3, first 2 shown]
	v_mul_f32_e32 v50, 0xbf7ee86f, v174
	v_sub_f32_e32 v196, v117, v111
	v_sub_f32_e32 v197, v55, v52
	v_add_f32_e32 v139, v117, v111
	v_sub_f32_e32 v212, v120, v113
	buffer_store_dword v50, off, s[20:23], 0 offset:24 ; 4-byte Folded Spill
	v_fma_f32 v50, 0x3dbcf732, v101, -v50
	v_mul_f32_e32 v161, 0xbf06c442, v196
	v_mul_f32_e32 v162, 0xbf06c442, v197
	v_add_f32_e32 v142, v54, v118
	v_mul_f32_e32 v179, 0xbe3c28d5, v212
	v_add_f32_e32 v49, v50, v49
	v_fmamk_f32 v50, v129, 0xbe8c1d8e, v157
	v_sub_f32_e32 v213, v54, v118
	v_add_f32_e32 v144, v120, v113
	v_mul_f32_e32 v245, 0xbf2c7751, v149
	v_mul_f32_e32 v251, 0xbf2c7751, v186
	v_add_f32_e32 v48, v50, v48
	v_mul_f32_e32 v50, 0xbf763a35, v181
	v_mul_f32_e32 v190, 0xbe3c28d5, v213
	;; [unrolled: 1-line block ×5, first 2 shown]
	buffer_store_dword v50, off, s[20:23], 0 offset:32 ; 4-byte Folded Spill
	v_fma_f32 v50, 0xbe8c1d8e, v130, -v50
	v_mul_f32_e32 v185, 0xbe3c28d5, v172
	v_mul_f32_e32 v198, 0xbe3c28d5, v174
	;; [unrolled: 1-line block ×4, first 2 shown]
	v_add_f32_e32 v49, v50, v49
	v_mul_f32_e32 v50, 0xbf4c4adb, v189
	v_mul_f32_e32 v178, 0x3f763a35, v189
	;; [unrolled: 1-line block ×5, first 2 shown]
	buffer_store_dword v50, off, s[20:23], 0 offset:40 ; 4-byte Folded Spill
	v_fmamk_f32 v50, v133, 0xbf1a4643, v50
	v_mul_f32_e32 v63, 0x3eb8f4ab, v212
	v_mul_f32_e32 v177, 0x3eb8f4ab, v213
	;; [unrolled: 1-line block ×4, first 2 shown]
	v_add_f32_e32 v48, v50, v48
	v_mul_f32_e32 v50, 0xbf4c4adb, v194
	v_fma_f32 v51, 0x3f6eb680, v144, -v177
	v_mul_f32_e32 v204, 0x3e3c28d5, v169
	v_mul_f32_e32 v203, 0x3f763a35, v172
	;; [unrolled: 1-line block ×3, first 2 shown]
	buffer_store_dword v50, off, s[20:23], 0 offset:36 ; 4-byte Folded Spill
	v_fma_f32 v50, 0xbf1a4643, v134, -v50
	buffer_store_dword v55, off, s[20:23], 0 offset:44 ; 4-byte Folded Spill
	buffer_store_dword v52, off, s[20:23], 0 offset:56 ; 4-byte Folded Spill
	v_mul_f32_e32 v201, 0xbeb8f4ab, v189
	v_mul_f32_e32 v200, 0xbf7ee86f, v196
	;; [unrolled: 1-line block ×3, first 2 shown]
	v_add_f32_e32 v49, v50, v49
	v_fmamk_f32 v50, v138, 0xbf59a7d5, v161
	v_mul_f32_e32 v132, 0xbf65296c, v186
	v_mul_f32_e32 v210, 0xbf4c4adb, v170
	;; [unrolled: 1-line block ×4, first 2 shown]
	v_add_f32_e32 v48, v50, v48
	v_fma_f32 v50, 0xbf59a7d5, v139, -v162
	v_fma_f32 v52, 0xbf1a4643, v75, -v210
	v_mul_f32_e32 v209, 0x3f2c7751, v181
	v_mul_f32_e32 v208, 0xbeb8f4ab, v194
	;; [unrolled: 1-line block ×3, first 2 shown]
	v_add_f32_e32 v49, v50, v49
	v_fmamk_f32 v50, v142, 0xbf7ba420, v179
	v_mul_f32_e32 v206, 0xbf06c442, v213
	v_mul_f32_e32 v135, 0xbf7ee86f, v149
	;; [unrolled: 1-line block ×4, first 2 shown]
	v_add_f32_e32 v68, v50, v48
	v_fma_f32 v48, 0xbf7ba420, v144, -v190
	v_fma_f32 v50, 0x3dbcf732, v75, -v192
	v_fmamk_f32 v53, v70, 0xbf7ba420, v145
	v_mul_f32_e32 v223, 0xbe3c28d5, v170
	buffer_store_dword v54, off, s[20:23], 0 offset:48 ; 4-byte Folded Spill
	v_add_f32_e32 v69, v48, v49
	v_fmamk_f32 v48, v148, 0x3f3d2fb0, v245
	v_mul_f32_e32 v49, 0xbf7ee86f, v164
	v_fma_f32 v54, 0xbf7ba420, v75, -v223
	v_mul_f32_e32 v216, 0x3f763a35, v169
	v_mul_f32_e32 v225, 0x3f763a35, v173
	v_add_f32_e32 v48, v60, v48
	buffer_store_dword v49, off, s[20:23], 0 offset:52 ; 4-byte Folded Spill
	v_fmamk_f32 v49, v70, 0x3dbcf732, v49
	v_mul_f32_e32 v217, 0x3eb8f4ab, v172
	v_mul_f32_e32 v226, 0x3eb8f4ab, v174
	;; [unrolled: 1-line block ×4, first 2 shown]
	v_add_f32_e32 v48, v49, v48
	v_fma_f32 v49, 0x3f3d2fb0, v171, -v251
	v_mul_f32_e32 v219, 0xbf06c442, v189
	v_mul_f32_e32 v77, 0xbf06c442, v194
	;; [unrolled: 1-line block ×4, first 2 shown]
	v_add_f32_e32 v49, v61, v49
	v_mul_f32_e32 v221, 0x3f2c7751, v212
	v_mul_f32_e32 v222, 0x3f2c7751, v213
	;; [unrolled: 1-line block ×4, first 2 shown]
	v_add_f32_e32 v49, v50, v49
	v_fmamk_f32 v50, v71, 0xbf1a4643, v188
	v_fma_f32 v55, 0x3f3d2fb0, v144, -v222
	v_mul_f32_e32 v160, 0x3f2c7751, v169
	v_mul_f32_e32 v163, 0xbf65296c, v172
	;; [unrolled: 1-line block ×3, first 2 shown]
	v_add_f32_e32 v48, v50, v48
	v_fma_f32 v50, 0xbf1a4643, v79, -v193
	v_mul_f32_e32 v159, 0x3f7ee86f, v189
	v_mul_f32_e32 v156, 0xbeb8f4ab, v196
	;; [unrolled: 1-line block ×4, first 2 shown]
	v_add_f32_e32 v49, v50, v49
	v_fmamk_f32 v50, v78, 0xbf7ba420, v185
	v_mul_f32_e32 v231, 0x3f06c442, v170
	v_mul_f32_e32 v232, 0x3f2c7751, v173
	;; [unrolled: 1-line block ×4, first 2 shown]
	v_add_f32_e32 v48, v50, v48
	v_fma_f32 v50, 0xbf7ba420, v101, -v198
	v_fma_f32 v56, 0xbf59a7d5, v75, -v231
	v_mul_f32_e32 v229, 0x3f7ee86f, v194
	v_mul_f32_e32 v228, 0xbeb8f4ab, v197
	;; [unrolled: 1-line block ×3, first 2 shown]
	v_add_f32_e32 v49, v50, v49
	v_fmamk_f32 v50, v129, 0xbf59a7d5, v180
	v_mul_f32_e32 v141, 0xbf4c4adb, v149
	v_mul_f32_e32 v126, 0x3f763a35, v164
	;; [unrolled: 1-line block ×4, first 2 shown]
	v_add_f32_e32 v48, v50, v48
	v_fma_f32 v50, 0xbf59a7d5, v130, -v191
	v_fmamk_f32 v57, v70, 0xbe8c1d8e, v126
	v_mul_f32_e32 v123, 0xbeb8f4ab, v169
	v_fma_f32 v58, 0xbe8c1d8e, v75, -v236
	v_mul_f32_e32 v237, 0xbeb8f4ab, v173
	v_add_f32_e32 v49, v50, v49
	v_fmamk_f32 v50, v133, 0xbe8c1d8e, v178
	v_mul_f32_e32 v80, 0xbf06c442, v172
	v_mul_f32_e32 v239, 0xbf06c442, v174
	;; [unrolled: 1-line block ×4, first 2 shown]
	v_add_f32_e32 v48, v50, v48
	v_fma_f32 v50, 0xbe8c1d8e, v134, -v187
	v_mul_f32_e32 v121, 0xbf2c7751, v189
	v_mul_f32_e32 v240, 0xbf2c7751, v194
	;; [unrolled: 1-line block ×4, first 2 shown]
	v_add_f32_e32 v49, v50, v49
	v_fmamk_f32 v50, v138, 0x3ee437d1, v62
	v_mul_f32_e32 v234, 0x3f65296c, v212
	v_mul_f32_e32 v235, 0x3f65296c, v213
	;; [unrolled: 1-line block ×4, first 2 shown]
	v_add_f32_e32 v48, v50, v48
	v_fma_f32 v50, 0x3ee437d1, v139, -v182
	v_fma_f32 v59, 0x3ee437d1, v144, -v235
	v_mul_f32_e32 v248, 0xbf7ee86f, v169
	v_mul_f32_e32 v247, 0x3f4c4adb, v172
	;; [unrolled: 1-line block ×3, first 2 shown]
	v_add_f32_e32 v49, v50, v49
	v_fmamk_f32 v50, v142, 0x3f6eb680, v63
	v_mul_f32_e32 v244, 0xbe3c28d5, v189
	v_mul_f32_e32 v243, 0x3f2c7751, v196
	;; [unrolled: 1-line block ×3, first 2 shown]
	v_add_f32_e32 v51, v51, v49
	v_add_f32_e32 v50, v50, v48
	v_fmamk_f32 v48, v148, 0x3ee437d1, v131
	v_fmamk_f32 v49, v70, 0xbf1a4643, v205
	v_mul_f32_e32 v150, 0xbf06c442, v186
	v_mul_f32_e32 v255, 0x3f65296c, v170
	;; [unrolled: 1-line block ×3, first 2 shown]
	v_add_f32_e32 v48, v60, v48
	v_mul_f32_e32 v254, 0xbeb8f4ab, v181
	v_mul_f32_e32 v253, 0xbe3c28d5, v194
	v_fma_f32 v102, 0x3ee437d1, v75, -v255
	v_mul_f32_e32 v252, 0x3f2c7751, v197
	v_add_f32_e32 v48, v49, v48
	v_fmamk_f32 v49, v71, 0xbf7ba420, v204
	v_add_f32_e32 v48, v49, v48
	v_fmamk_f32 v49, v78, 0xbe8c1d8e, v203
	;; [unrolled: 2-line block ×6, first 2 shown]
	v_add_f32_e32 v48, v49, v48
	v_fma_f32 v49, 0x3ee437d1, v171, -v132
	v_add_f32_e32 v49, v61, v49
	v_add_f32_e32 v49, v52, v49
	v_fma_f32 v52, 0xbf7ba420, v79, -v211
	v_add_f32_e32 v49, v52, v49
	v_fma_f32 v52, 0xbe8c1d8e, v101, -v214
	;; [unrolled: 2-line block ×6, first 2 shown]
	v_add_f32_e32 v49, v52, v49
	v_fmamk_f32 v52, v148, 0x3dbcf732, v135
	v_add_f32_e32 v52, v60, v52
	v_add_f32_e32 v52, v53, v52
	v_fma_f32 v53, 0x3dbcf732, v171, -v136
	v_add_f32_e32 v53, v61, v53
	v_add_f32_e32 v53, v54, v53
	v_fmamk_f32 v54, v71, 0xbe8c1d8e, v216
	v_add_f32_e32 v52, v54, v52
	v_fma_f32 v54, 0xbe8c1d8e, v79, -v225
	v_add_f32_e32 v53, v54, v53
	v_fmamk_f32 v54, v78, 0x3f6eb680, v217
	v_add_f32_e32 v52, v54, v52
	v_fma_f32 v54, 0x3f6eb680, v101, -v226
	;; [unrolled: 4-line block ×5, first 2 shown]
	v_add_f32_e32 v53, v54, v53
	v_fmamk_f32 v54, v142, 0x3f3d2fb0, v221
	v_add_f32_e32 v55, v55, v53
	v_add_f32_e32 v54, v54, v52
	v_fmamk_f32 v52, v148, 0xbe8c1d8e, v137
	v_fmamk_f32 v53, v70, 0xbf59a7d5, v165
	v_add_f32_e32 v52, v60, v52
	v_add_f32_e32 v52, v53, v52
	v_fmamk_f32 v53, v71, 0x3f3d2fb0, v160
	v_add_f32_e32 v52, v53, v52
	v_fmamk_f32 v53, v78, 0x3ee437d1, v163
	v_add_f32_e32 v52, v53, v52
	v_fmamk_f32 v53, v129, 0xbf7ba420, v227
	v_add_f32_e32 v52, v53, v52
	v_fmamk_f32 v53, v133, 0x3dbcf732, v159
	v_add_f32_e32 v52, v53, v52
	v_fmamk_f32 v53, v138, 0x3f6eb680, v156
	v_add_f32_e32 v52, v53, v52
	v_fmamk_f32 v53, v142, 0xbf1a4643, v155
	v_add_f32_e32 v52, v53, v52
	v_fma_f32 v53, 0xbe8c1d8e, v171, -v140
	v_add_f32_e32 v53, v61, v53
	v_add_f32_e32 v53, v56, v53
	v_fma_f32 v56, 0x3f3d2fb0, v79, -v232
	v_add_f32_e32 v53, v56, v53
	v_fma_f32 v56, 0x3ee437d1, v101, -v233
	;; [unrolled: 2-line block ×6, first 2 shown]
	v_add_f32_e32 v53, v56, v53
	v_fmamk_f32 v56, v148, 0xbf1a4643, v141
	v_add_f32_e32 v56, v60, v56
	v_add_f32_e32 v56, v57, v56
	v_fma_f32 v57, 0xbf1a4643, v171, -v146
	v_add_f32_e32 v57, v61, v57
	v_add_f32_e32 v57, v58, v57
	v_fmamk_f32 v58, v71, 0x3f6eb680, v123
	v_add_f32_e32 v56, v58, v56
	v_fma_f32 v58, 0x3f6eb680, v79, -v237
	v_add_f32_e32 v57, v58, v57
	v_fmamk_f32 v58, v78, 0xbf59a7d5, v80
	v_add_f32_e32 v56, v58, v56
	v_fma_f32 v58, 0xbf59a7d5, v101, -v239
	;; [unrolled: 4-line block ×5, first 2 shown]
	v_add_f32_e32 v57, v58, v57
	v_fmamk_f32 v58, v142, 0x3ee437d1, v234
	v_add_f32_e32 v59, v59, v57
	v_add_f32_e32 v58, v58, v56
	v_fmamk_f32 v56, v148, 0xbf59a7d5, v147
	v_fmamk_f32 v57, v70, 0x3ee437d1, v249
	v_add_f32_e32 v56, v60, v56
	v_add_f32_e32 v56, v57, v56
	v_fmamk_f32 v57, v71, 0x3dbcf732, v248
	v_add_f32_e32 v56, v57, v56
	v_fmamk_f32 v57, v78, 0xbf1a4643, v247
	;; [unrolled: 2-line block ×6, first 2 shown]
	v_add_f32_e32 v56, v57, v56
	v_fma_f32 v57, 0xbf59a7d5, v171, -v150
	v_add_f32_e32 v57, v61, v57
	v_add_f32_e32 v57, v102, v57
	v_fma_f32 v102, 0x3dbcf732, v79, -v104
	v_add_f32_e32 v57, v102, v57
	v_mul_f32_e32 v102, 0x3f4c4adb, v174
	v_fma_f32 v250, 0xbf1a4643, v101, -v102
	v_add_f32_e32 v57, v250, v57
	v_fma_f32 v250, 0x3f6eb680, v130, -v254
	v_add_f32_e32 v57, v250, v57
	;; [unrolled: 2-line block ×4, first 2 shown]
	v_mul_f32_e32 v250, 0xbf763a35, v213
	v_fma_f32 v151, 0xbe8c1d8e, v144, -v250
	v_add_f32_e32 v57, v151, v57
	s_and_saveexec_b32 s0, vcc_lo
	s_cbranch_execz .LBB0_5
; %bb.4:
	v_mul_f32_e32 v151, 0xbf59a7d5, v171
	v_mul_f32_e32 v186, 0xbe3c28d5, v186
	v_mul_f32_e32 v149, 0xbe3c28d5, v149
	v_mul_f32_e32 v170, 0x3eb8f4ab, v170
	v_mov_b32_e32 v168, v162
	v_add_f32_e32 v150, v150, v151
	v_mul_f32_e32 v151, 0xbf59a7d5, v148
	v_mov_b32_e32 v162, v157
	v_mov_b32_e32 v157, v152
	buffer_store_dword v224, off, s[20:23], 0 offset:72 ; 4-byte Folded Spill
	buffer_store_dword v153, off, s[20:23], 0 offset:68 ; 4-byte Folded Spill
	;; [unrolled: 1-line block ×4, first 2 shown]
	v_mov_b32_e32 v108, v167
	v_sub_f32_e32 v147, v151, v147
	v_mul_f32_e32 v151, 0xbf1a4643, v171
	v_add_f32_e32 v167, v60, v76
	v_mul_f32_e32 v164, 0x3eb8f4ab, v164
	v_mul_f32_e32 v173, 0xbf06c442, v173
	v_add_f32_e32 v147, v60, v147
	v_add_f32_e32 v146, v146, v151
	v_mul_f32_e32 v151, 0xbf1a4643, v148
	v_add_f32_e32 v150, v61, v150
	v_add_f32_e32 v143, v61, v143
	v_mul_f32_e32 v169, 0xbf06c442, v169
	v_add_f32_e32 v146, v61, v146
	v_sub_f32_e32 v141, v151, v141
	v_mul_f32_e32 v151, 0xbe8c1d8e, v171
	v_mul_f32_e32 v174, 0x3f2c7751, v174
	;; [unrolled: 1-line block ×4, first 2 shown]
	v_add_f32_e32 v141, v60, v141
	v_add_f32_e32 v140, v140, v151
	v_mul_f32_e32 v151, 0xbe8c1d8e, v148
	v_mul_f32_e32 v175, 0xbf4c4adb, v175
	;; [unrolled: 1-line block ×4, first 2 shown]
	v_add_f32_e32 v140, v61, v140
	v_sub_f32_e32 v137, v151, v137
	v_mul_f32_e32 v151, 0x3dbcf732, v171
	v_mul_f32_e32 v212, 0x3f7ee86f, v212
	v_add_f32_e32 v128, v143, v128
	v_mul_f32_e32 v143, 0xbf7ba420, v78
	v_add_f32_e32 v137, v60, v137
	v_add_f32_e32 v136, v136, v151
	v_mul_f32_e32 v151, 0x3dbcf732, v148
	v_add_f32_e32 v125, v128, v125
	v_sub_f32_e32 v143, v143, v185
	v_sub_f32_e32 v135, v151, v135
	v_mul_f32_e32 v151, 0x3ee437d1, v171
	v_add_f32_e32 v125, v125, v127
	v_add_f32_e32 v152, v60, v135
	;; [unrolled: 1-line block ×3, first 2 shown]
	v_mul_f32_e32 v151, 0x3ee437d1, v148
	v_mul_f32_e32 v135, 0xbe8c1d8e, v70
	v_add_f32_e32 v122, v125, v122
	v_add_f32_e32 v153, v61, v132
	v_sub_f32_e32 v131, v151, v131
	v_mul_f32_e32 v151, 0x3f3d2fb0, v171
	v_mul_f32_e32 v132, 0x3dbcf732, v79
	v_sub_f32_e32 v135, v135, v126
	v_mul_f32_e32 v126, 0xbf59a7d5, v130
	v_add_f32_e32 v154, v60, v131
	v_add_f32_e32 v151, v251, v151
	v_mul_f32_e32 v251, 0x3f3d2fb0, v148
	v_fmamk_f32 v131, v79, 0xbf59a7d5, v173
	v_add_f32_e32 v104, v104, v132
	v_mul_f32_e32 v132, 0x3dbcf732, v71
	v_add_f32_e32 v151, v61, v151
	v_sub_f32_e32 v245, v251, v245
	v_mul_f32_e32 v251, 0x3f6eb680, v171
	v_add_f32_e32 v126, v191, v126
	v_sub_f32_e32 v132, v132, v248
	v_add_f32_e32 v245, v60, v245
	v_add_f32_e32 v195, v195, v251
	v_mul_f32_e32 v251, 0x3f6eb680, v148
	v_add_f32_e32 v195, v61, v195
	v_sub_f32_e32 v184, v251, v184
	v_fmamk_f32 v251, v171, 0xbf7ba420, v186
	v_fma_f32 v171, 0xbf7ba420, v171, -v186
	v_fma_f32 v186, 0xbf7ba420, v148, -v149
	v_fmac_f32_e32 v149, 0xbf7ba420, v148
	v_add_f32_e32 v184, v60, v184
	v_add_f32_e32 v148, v61, v251
	;; [unrolled: 1-line block ×5, first 2 shown]
	v_fmamk_f32 v60, v75, 0x3f6eb680, v170
	v_add_f32_e32 v171, v61, v171
	v_fma_f32 v61, 0x3f6eb680, v70, -v164
	v_mul_f32_e32 v136, 0x3f3d2fb0, v134
	v_mul_f32_e32 v149, 0x3ee437d1, v71
	v_add_f32_e32 v60, v60, v148
	v_fmac_f32_e32 v164, 0x3f6eb680, v70
	v_add_f32_e32 v61, v61, v186
	v_mul_f32_e32 v186, 0x3f65296c, v194
	v_mul_f32_e32 v194, 0xbf763a35, v197
	v_add_f32_e32 v60, v131, v60
	v_fma_f32 v131, 0xbf59a7d5, v71, -v169
	v_mul_f32_e32 v197, 0x3f7ee86f, v213
	v_add_f32_e32 v136, v240, v136
	v_sub_f32_e32 v149, v149, v157
	v_fmac_f32_e32 v169, 0xbf59a7d5, v71
	v_add_f32_e32 v61, v131, v61
	v_fmamk_f32 v131, v101, 0x3f3d2fb0, v174
	v_add_f32_e32 v60, v131, v60
	v_fma_f32 v131, 0x3f3d2fb0, v78, -v172
	v_fmac_f32_e32 v172, 0x3f3d2fb0, v78
	v_add_f32_e32 v61, v131, v61
	v_fmamk_f32 v131, v130, 0xbf1a4643, v181
	v_add_f32_e32 v60, v131, v60
	v_fma_f32 v131, 0xbf1a4643, v129, -v175
	;; [unrolled: 5-line block ×5, first 2 shown]
	v_fmac_f32_e32 v212, 0x3dbcf732, v142
	v_add_f32_e32 v60, v60, v131
	v_mul_f32_e32 v131, 0x3ee437d1, v75
	v_add_f32_e32 v131, v255, v131
	v_add_f32_e32 v131, v131, v150
	;; [unrolled: 1-line block ×3, first 2 shown]
	v_mul_f32_e32 v131, 0xbf1a4643, v101
	v_add_f32_e32 v102, v102, v131
	v_mul_f32_e32 v131, 0x3ee437d1, v70
	v_add_f32_e32 v102, v102, v104
	v_sub_f32_e32 v131, v131, v249
	v_mul_f32_e32 v104, 0x3f6eb680, v130
	v_add_f32_e32 v131, v131, v147
	v_add_f32_e32 v104, v254, v104
	v_mul_f32_e32 v147, 0xbf7ba420, v71
	v_add_f32_e32 v131, v132, v131
	v_add_f32_e32 v102, v104, v102
	v_mul_f32_e32 v104, 0xbf7ba420, v134
	v_mul_f32_e32 v132, 0xbf1a4643, v78
	v_sub_f32_e32 v147, v147, v204
	v_add_f32_e32 v104, v253, v104
	v_sub_f32_e32 v132, v132, v247
	v_add_f32_e32 v102, v104, v102
	v_add_f32_e32 v104, v132, v131
	v_mul_f32_e32 v131, 0x3f6eb680, v129
	v_mul_f32_e32 v132, 0x3f3d2fb0, v139
	v_sub_f32_e32 v131, v131, v246
	v_add_f32_e32 v132, v252, v132
	v_add_f32_e32 v104, v131, v104
	v_mul_f32_e32 v131, 0xbf7ba420, v133
	v_add_f32_e32 v102, v132, v102
	v_mul_f32_e32 v132, 0xbe8c1d8e, v144
	v_sub_f32_e32 v131, v131, v244
	v_add_f32_e32 v132, v250, v132
	v_add_f32_e32 v104, v131, v104
	v_mul_f32_e32 v131, 0x3f3d2fb0, v138
	v_add_f32_e32 v132, v132, v102
	;; [unrolled: 6-line block ×3, first 2 shown]
	v_sub_f32_e32 v131, v131, v242
	v_add_f32_e32 v131, v131, v104
	v_mul_f32_e32 v104, 0x3f6eb680, v79
	v_add_f32_e32 v104, v237, v104
	v_add_f32_e32 v102, v104, v102
	v_mul_f32_e32 v104, 0xbf59a7d5, v101
	v_add_f32_e32 v104, v239, v104
	;; [unrolled: 3-line block ×3, first 2 shown]
	v_add_f32_e32 v102, v104, v102
	v_add_f32_e32 v104, v135, v141
	v_mul_f32_e32 v135, 0x3f6eb680, v71
	v_add_f32_e32 v102, v136, v102
	v_mul_f32_e32 v136, 0xbf7ba420, v139
	v_sub_f32_e32 v135, v135, v123
	v_mul_f32_e32 v123, 0xbe8c1d8e, v134
	v_add_f32_e32 v136, v238, v136
	v_add_f32_e32 v104, v135, v104
	v_mul_f32_e32 v135, 0xbf59a7d5, v78
	v_add_f32_e32 v123, v187, v123
	v_add_f32_e32 v102, v136, v102
	v_mul_f32_e32 v136, 0x3ee437d1, v144
	v_sub_f32_e32 v135, v135, v80
	v_add_f32_e32 v80, v167, v176
	v_add_f32_e32 v136, v235, v136
	;; [unrolled: 1-line block ×3, first 2 shown]
	v_mul_f32_e32 v135, 0x3dbcf732, v129
	v_add_f32_e32 v80, v80, v112
	v_mul_f32_e32 v112, 0x3ee437d1, v138
	v_add_f32_e32 v136, v136, v102
	v_mul_f32_e32 v102, 0xbf59a7d5, v75
	v_sub_f32_e32 v135, v135, v116
	v_mul_f32_e32 v116, 0xbe8c1d8e, v133
	v_sub_f32_e32 v112, v112, v62
	v_add_f32_e32 v80, v80, v119
	v_add_f32_e32 v102, v231, v102
	;; [unrolled: 1-line block ×3, first 2 shown]
	v_mul_f32_e32 v135, 0x3f3d2fb0, v133
	v_sub_f32_e32 v116, v116, v178
	v_add_f32_e32 v80, v80, v114
	v_add_f32_e32 v102, v102, v140
	v_mul_f32_e32 v140, 0xbf59a7d5, v70
	v_sub_f32_e32 v135, v135, v121
	v_mul_f32_e32 v121, 0xbf59a7d5, v129
	v_add_f32_e32 v80, v80, v215
	v_mul_f32_e32 v119, 0x3ee437d1, v139
	v_sub_f32_e32 v140, v140, v165
	v_add_f32_e32 v104, v135, v104
	v_mul_f32_e32 v135, 0xbf7ba420, v138
	v_sub_f32_e32 v121, v121, v180
	v_add_f32_e32 v119, v182, v119
	v_add_f32_e32 v137, v140, v137
	v_mul_f32_e32 v140, 0x3f3d2fb0, v71
	v_sub_f32_e32 v135, v135, v183
	v_mul_f32_e32 v114, 0x3f6eb680, v144
	buffer_load_dword v62, off, s[20:23], 0 offset:48 ; 4-byte Folded Reload
	v_sub_f32_e32 v140, v140, v160
	v_add_f32_e32 v104, v135, v104
	v_mul_f32_e32 v135, 0x3ee437d1, v142
	v_add_f32_e32 v114, v177, v114
	v_add_f32_e32 v137, v140, v137
	v_mul_f32_e32 v140, 0x3ee437d1, v78
	v_sub_f32_e32 v135, v135, v234
	v_sub_f32_e32 v140, v140, v163
	v_add_f32_e32 v135, v135, v104
	v_mul_f32_e32 v104, 0x3f3d2fb0, v79
	v_add_f32_e32 v104, v232, v104
	v_add_f32_e32 v102, v104, v102
	v_mul_f32_e32 v104, 0x3ee437d1, v101
	v_add_f32_e32 v104, v233, v104
	;; [unrolled: 3-line block ×4, first 2 shown]
	v_add_f32_e32 v102, v104, v102
	v_add_f32_e32 v104, v140, v137
	v_mul_f32_e32 v137, 0xbf7ba420, v129
	v_mul_f32_e32 v140, 0x3f6eb680, v139
	v_sub_f32_e32 v137, v137, v227
	v_add_f32_e32 v140, v228, v140
	v_add_f32_e32 v104, v137, v104
	v_mul_f32_e32 v137, 0x3dbcf732, v133
	v_add_f32_e32 v102, v140, v102
	v_mul_f32_e32 v140, 0xbf1a4643, v144
	v_sub_f32_e32 v137, v137, v159
	v_add_f32_e32 v140, v166, v140
	v_add_f32_e32 v104, v137, v104
	v_mul_f32_e32 v137, 0x3f6eb680, v138
	v_add_f32_e32 v141, v140, v102
	;; [unrolled: 6-line block ×3, first 2 shown]
	v_sub_f32_e32 v137, v137, v155
	v_add_f32_e32 v140, v137, v104
	v_mul_f32_e32 v104, 0xbe8c1d8e, v79
	v_mul_f32_e32 v137, 0xbf7ba420, v70
	v_add_f32_e32 v104, v225, v104
	v_sub_f32_e32 v137, v137, v145
	v_mul_f32_e32 v145, 0xbf59a7d5, v134
	v_add_f32_e32 v102, v104, v102
	v_mul_f32_e32 v104, 0x3f6eb680, v101
	v_add_f32_e32 v145, v77, v145
	v_add_f32_e32 v104, v226, v104
	;; [unrolled: 1-line block ×3, first 2 shown]
	v_mul_f32_e32 v104, 0x3ee437d1, v130
	v_add_f32_e32 v104, v158, v104
	v_add_f32_e32 v102, v104, v102
	;; [unrolled: 1-line block ×3, first 2 shown]
	v_mul_f32_e32 v137, 0xbe8c1d8e, v71
	v_add_f32_e32 v102, v145, v102
	v_mul_f32_e32 v145, 0xbf1a4643, v139
	v_sub_f32_e32 v137, v137, v216
	v_add_f32_e32 v145, v73, v145
	buffer_load_dword v73, off, s[20:23], 0 offset:16 ; 4-byte Folded Reload
	v_add_f32_e32 v104, v137, v104
	v_mul_f32_e32 v137, 0x3f6eb680, v78
	v_add_f32_e32 v102, v145, v102
	v_mul_f32_e32 v145, 0x3f3d2fb0, v144
	v_sub_f32_e32 v137, v137, v217
	v_add_f32_e32 v145, v222, v145
	v_add_f32_e32 v104, v137, v104
	v_mul_f32_e32 v137, 0x3ee437d1, v129
	v_add_f32_e32 v146, v145, v102
	v_mul_f32_e32 v102, 0xbf1a4643, v75
	v_sub_f32_e32 v137, v137, v218
	v_add_f32_e32 v102, v210, v102
	v_add_f32_e32 v104, v137, v104
	v_mul_f32_e32 v137, 0xbf59a7d5, v133
	v_add_f32_e32 v102, v102, v153
	v_sub_f32_e32 v137, v137, v219
	v_add_f32_e32 v104, v137, v104
	v_mul_f32_e32 v137, 0xbf1a4643, v138
	v_sub_f32_e32 v137, v137, v220
	v_add_f32_e32 v104, v137, v104
	v_mul_f32_e32 v137, 0x3f3d2fb0, v142
	;; [unrolled: 3-line block ×3, first 2 shown]
	v_mul_f32_e32 v137, 0xbf1a4643, v70
	v_add_f32_e32 v104, v211, v104
	v_sub_f32_e32 v137, v137, v205
	v_add_f32_e32 v102, v104, v102
	v_mul_f32_e32 v104, 0xbe8c1d8e, v101
	v_add_f32_e32 v137, v137, v154
	v_add_f32_e32 v104, v214, v104
	;; [unrolled: 1-line block ×3, first 2 shown]
	v_mul_f32_e32 v147, 0xbe8c1d8e, v78
	v_add_f32_e32 v102, v104, v102
	v_mul_f32_e32 v104, 0x3f3d2fb0, v130
	v_sub_f32_e32 v147, v147, v203
	v_add_f32_e32 v104, v209, v104
	v_add_f32_e32 v102, v104, v102
	v_mul_f32_e32 v104, 0x3f6eb680, v134
	v_add_f32_e32 v104, v208, v104
	v_add_f32_e32 v102, v104, v102
	v_add_f32_e32 v104, v147, v137
	v_mul_f32_e32 v147, 0x3dbcf732, v139
	v_mul_f32_e32 v137, 0x3f3d2fb0, v129
	v_add_f32_e32 v147, v207, v147
	v_sub_f32_e32 v137, v137, v202
	v_add_f32_e32 v102, v147, v102
	v_mul_f32_e32 v147, 0xbf59a7d5, v144
	v_add_f32_e32 v104, v137, v104
	v_mul_f32_e32 v137, 0x3f6eb680, v133
	v_add_f32_e32 v147, v206, v147
	v_sub_f32_e32 v137, v137, v201
	v_add_f32_e32 v148, v147, v102
	v_mul_f32_e32 v102, 0x3f3d2fb0, v75
	v_add_f32_e32 v104, v137, v104
	v_mul_f32_e32 v137, 0x3dbcf732, v138
	v_sub_f32_e32 v137, v137, v200
	v_add_f32_e32 v104, v137, v104
	v_mul_f32_e32 v137, 0xbf59a7d5, v142
	v_sub_f32_e32 v137, v137, v199
	v_add_f32_e32 v147, v137, v104
	v_mul_f32_e32 v104, 0x3f3d2fb0, v70
	v_mul_f32_e32 v137, 0x3ee437d1, v79
	s_waitcnt vmcnt(0)
	v_add_f32_e32 v102, v73, v102
	buffer_load_dword v73, off, s[20:23], 0 offset:12 ; 4-byte Folded Reload
	v_add_f32_e32 v102, v102, v195
	s_waitcnt vmcnt(0)
	v_sub_f32_e32 v104, v104, v73
	buffer_load_dword v73, off, s[20:23], 0 offset:20 ; 4-byte Folded Reload
	v_add_f32_e32 v104, v104, v184
	v_add_f32_e32 v104, v149, v104
	v_mul_f32_e32 v149, 0x3dbcf732, v78
	s_waitcnt vmcnt(0)
	v_add_f32_e32 v137, v73, v137
	buffer_load_dword v73, off, s[20:23], 0 offset:24 ; 4-byte Folded Reload
	v_add_f32_e32 v102, v137, v102
	v_mul_f32_e32 v137, 0x3dbcf732, v101
	s_waitcnt vmcnt(0)
	v_add_f32_e32 v137, v73, v137
	buffer_load_dword v73, off, s[20:23], 0 offset:28 ; 4-byte Folded Reload
	v_add_f32_e32 v102, v137, v102
	v_mul_f32_e32 v137, 0xbe8c1d8e, v130
	s_waitcnt vmcnt(0)
	v_sub_f32_e32 v149, v149, v73
	buffer_load_dword v73, off, s[20:23], 0 offset:32 ; 4-byte Folded Reload
	v_add_f32_e32 v104, v149, v104
	v_mul_f32_e32 v149, 0xbe8c1d8e, v129
	v_sub_f32_e32 v149, v149, v162
	v_add_f32_e32 v104, v149, v104
	v_mul_f32_e32 v149, 0xbf1a4643, v133
	s_waitcnt vmcnt(0)
	v_add_f32_e32 v137, v73, v137
	buffer_load_dword v73, off, s[20:23], 0 offset:36 ; 4-byte Folded Reload
	v_add_f32_e32 v102, v137, v102
	v_mul_f32_e32 v137, 0xbf1a4643, v134
	s_waitcnt vmcnt(0)
	v_add_f32_e32 v137, v73, v137
	buffer_load_dword v73, off, s[20:23], 0 offset:40 ; 4-byte Folded Reload
	v_add_f32_e32 v102, v137, v102
	v_mul_f32_e32 v137, 0xbf59a7d5, v139
	v_add_f32_e32 v137, v168, v137
	v_add_f32_e32 v102, v137, v102
	v_mul_f32_e32 v137, 0xbf7ba420, v144
	v_add_f32_e32 v137, v190, v137
	v_add_f32_e32 v150, v137, v102
	v_mul_f32_e32 v102, 0x3dbcf732, v75
	v_mul_f32_e32 v137, 0xbf1a4643, v79
	v_fma_f32 v75, 0x3f6eb680, v75, -v170
	v_fma_f32 v79, 0xbf59a7d5, v79, -v173
	v_add_f32_e32 v102, v192, v102
	v_add_f32_e32 v137, v193, v137
	;; [unrolled: 1-line block ×4, first 2 shown]
	v_mul_f32_e32 v151, 0xbf1a4643, v71
	v_add_f32_e32 v71, v79, v75
	v_fma_f32 v75, 0x3f3d2fb0, v101, -v174
	v_add_f32_e32 v102, v137, v102
	v_sub_f32_e32 v151, v151, v188
	v_mul_f32_e32 v137, 0xbf7ba420, v101
	v_add_f32_e32 v137, v198, v137
	v_add_f32_e32 v102, v137, v102
	;; [unrolled: 1-line block ×5, first 2 shown]
	s_waitcnt vmcnt(0)
	v_sub_f32_e32 v149, v149, v73
	buffer_load_dword v73, off, s[20:23], 0 offset:52 ; 4-byte Folded Reload
	v_add_f32_e32 v104, v149, v104
	v_mul_f32_e32 v149, 0xbf59a7d5, v138
	v_sub_f32_e32 v149, v149, v161
	v_add_f32_e32 v104, v149, v104
	v_mul_f32_e32 v149, 0xbf7ba420, v142
	v_sub_f32_e32 v149, v149, v179
	v_add_f32_e32 v149, v149, v104
	v_mul_f32_e32 v104, 0x3dbcf732, v70
	s_waitcnt vmcnt(0)
	v_sub_f32_e32 v104, v104, v73
	buffer_load_dword v73, off, s[20:23], 0 offset:44 ; 4-byte Folded Reload
	v_add_f32_e32 v104, v104, v245
	v_add_f32_e32 v104, v151, v104
	;; [unrolled: 1-line block ×8, first 2 shown]
	v_mul_f32_e32 v112, 0x3f6eb680, v142
	v_add_f32_e32 v116, v117, v120
	v_sub_f32_e32 v112, v112, v63
	buffer_load_dword v63, off, s[20:23], 0 offset:64 ; 4-byte Folded Reload
	v_add_f32_e32 v113, v116, v113
	v_add_f32_e32 v111, v113, v111
	;; [unrolled: 1-line block ×11, first 2 shown]
	s_waitcnt vmcnt(1)
	v_add_f32_e32 v80, v80, v73
	v_add_f32_e32 v80, v80, v62
	buffer_load_dword v62, off, s[20:23], 0 offset:56 ; 4-byte Folded Reload
	v_add_f32_e32 v80, v80, v118
	s_waitcnt vmcnt(0)
	v_add_f32_e32 v80, v80, v62
	buffer_load_dword v62, off, s[20:23], 0 offset:72 ; 4-byte Folded Reload
	v_add_f32_e32 v70, v80, v115
	v_add_f32_e32 v67, v70, v72
	;; [unrolled: 1-line block ×3, first 2 shown]
	v_fma_f32 v71, 0xbf1a4643, v130, -v181
	v_add_f32_e32 v75, v172, v76
	s_waitcnt vmcnt(0)
	v_add_f32_e32 v66, v67, v62
	buffer_load_dword v62, off, s[20:23], 0 offset:68 ; 4-byte Folded Reload
	v_add_f32_e32 v67, v71, v70
	v_fma_f32 v70, 0x3ee437d1, v134, -v186
	v_add_f32_e32 v71, v175, v75
	v_add_f32_e32 v67, v70, v67
	v_fma_f32 v70, 0xbe8c1d8e, v139, -v194
	v_add_f32_e32 v71, v189, v71
	;; [unrolled: 3-line block ×3, first 2 shown]
	v_add_f32_e32 v71, v70, v67
	v_add_f32_e32 v70, v212, v72
	s_waitcnt vmcnt(0)
	v_add_f32_e32 v66, v66, v62
	v_add_f32_e32 v62, v66, v108
	buffer_load_dword v108, off, s[20:23], 0 offset:60 ; 4-byte Folded Reload
	v_add_f32_e32 v66, v114, v102
	v_add_f32_e32 v63, v62, v63
	v_add_nc_u32_e32 v62, 0x800, v103
	ds_write2_b64 v103, v[65:66], v[147:148] offset0:100 offset1:150
	ds_write2_b64 v103, v[63:64], v[149:150] offset1:50
	v_add_nc_u32_e32 v63, 0xc00, v103
	v_add_nc_u32_e32 v64, 0x1000, v103
	ds_write2_b64 v103, v[145:146], v[140:141] offset0:200 offset1:250
	ds_write2_b64 v62, v[135:136], v[131:132] offset0:44 offset1:94
	;; [unrolled: 1-line block ×6, first 2 shown]
	ds_write_b64 v103, v[68:69] offset:6400
.LBB0_5:
	s_or_b32 exec_lo, exec_lo, s0
	v_add_co_u32 v60, s0, 0x1800, v105
	v_add_co_ci_u32_e64 v61, s0, 0, v106, s0
	v_add_co_u32 v62, s0, 0x1a90, v105
	v_add_co_ci_u32_e64 v63, s0, 0, v106, s0
	s_waitcnt vmcnt(0) lgkmcnt(0)
	s_waitcnt_vscnt null, 0x0
	s_barrier
	buffer_gl0_inv
	s_clause 0x1
	global_load_dwordx2 v[64:65], v[60:61], off offset:656
	global_load_dwordx2 v[66:67], v[62:63], off offset:680
	v_add_co_u32 v60, s0, 0x2000, v105
	v_add_co_ci_u32_e64 v61, s0, 0, v106, s0
	v_add_co_u32 v70, s0, 0x2800, v105
	v_add_co_ci_u32_e64 v71, s0, 0, v106, s0
	s_clause 0x4
	global_load_dwordx2 v[77:78], v[62:63], off offset:1360
	global_load_dwordx2 v[101:102], v[62:63], off offset:2040
	;; [unrolled: 1-line block ×5, first 2 shown]
	v_add_co_u32 v60, s0, 0x3000, v105
	v_add_co_ci_u32_e64 v61, s0, 0, v106, s0
	s_clause 0x2
	global_load_dwordx2 v[104:105], v[70:71], off offset:1320
	global_load_dwordx2 v[120:121], v[70:71], off offset:2000
	;; [unrolled: 1-line block ×3, first 2 shown]
	ds_read2_b64 v[60:63], v103 offset1:85
	s_waitcnt vmcnt(9) lgkmcnt(0)
	v_mul_f32_e32 v70, v61, v65
	v_mul_f32_e32 v71, v60, v65
	s_waitcnt vmcnt(8)
	v_mul_f32_e32 v72, v63, v67
	v_mul_f32_e32 v65, v62, v67
	v_fma_f32 v70, v60, v64, -v70
	v_fmac_f32_e32 v71, v61, v64
	v_fma_f32 v64, v62, v66, -v72
	v_fmac_f32_e32 v65, v63, v66
	v_add_nc_u32_e32 v72, 0x800, v103
	ds_write2_b64 v103, v[70:71], v[64:65] offset1:85
	v_add_nc_u32_e32 v71, 0xc00, v103
	v_add_nc_u32_e32 v70, 0x1000, v103
	ds_read2_b64 v[60:63], v103 offset0:170 offset1:255
	ds_read2_b64 v[64:67], v72 offset0:84 offset1:169
	;; [unrolled: 1-line block ×4, first 2 shown]
	s_waitcnt vmcnt(7) lgkmcnt(3)
	v_mul_f32_e32 v80, v61, v78
	v_mul_f32_e32 v79, v60, v78
	s_waitcnt vmcnt(6)
	v_mul_f32_e32 v125, v63, v102
	v_mul_f32_e32 v106, v62, v102
	s_waitcnt vmcnt(5) lgkmcnt(2)
	v_mul_f32_e32 v126, v65, v115
	v_mul_f32_e32 v102, v64, v115
	s_waitcnt vmcnt(4)
	v_mul_f32_e32 v127, v67, v117
	v_mul_f32_e32 v115, v66, v117
	;; [unrolled: 6-line block ×4, first 2 shown]
	v_fma_f32 v78, v60, v77, -v80
	v_fmac_f32_e32 v79, v61, v77
	v_fma_f32 v105, v62, v101, -v125
	v_fmac_f32_e32 v106, v63, v101
	v_fma_f32 v101, v64, v114, -v126
	v_fmac_f32_e32 v102, v65, v114
	v_fma_f32 v114, v66, v116, -v127
	v_fmac_f32_e32 v115, v67, v116
	v_fma_f32 v116, v73, v118, -v128
	v_fmac_f32_e32 v117, v74, v118
	v_fma_f32 v118, v75, v104, -v129
	v_fmac_f32_e32 v119, v76, v104
	v_fma_f32 v123, v110, v120, -v130
	v_fmac_f32_e32 v124, v111, v120
	v_fma_f32 v120, v112, v122, -v131
	v_fmac_f32_e32 v121, v113, v122
	ds_write2_b64 v103, v[78:79], v[105:106] offset0:170 offset1:255
	ds_write2_b64 v72, v[101:102], v[114:115] offset0:84 offset1:169
	;; [unrolled: 1-line block ×4, first 2 shown]
	s_waitcnt lgkmcnt(0)
	s_barrier
	buffer_gl0_inv
	ds_read2_b64 v[60:63], v103 offset1:85
	ds_read2_b64 v[64:67], v103 offset0:170 offset1:255
	ds_read2_b64 v[73:76], v72 offset0:84 offset1:169
	ds_read2_b64 v[110:113], v71 offset0:126 offset1:211
	ds_read2_b64 v[114:117], v70 offset0:168 offset1:253
	s_waitcnt lgkmcnt(0)
	s_barrier
	buffer_gl0_inv
	v_add_f32_e32 v77, v60, v64
	v_sub_f32_e32 v101, v64, v73
	v_add_f32_e32 v78, v73, v110
	v_sub_f32_e32 v79, v65, v115
	v_sub_f32_e32 v102, v114, v110
	v_add_f32_e32 v104, v64, v114
	v_sub_f32_e32 v105, v73, v64
	v_sub_f32_e32 v106, v110, v114
	v_add_f32_e32 v118, v61, v65
	v_add_f32_e32 v119, v74, v111
	v_sub_f32_e32 v121, v65, v74
	v_add_f32_e32 v123, v65, v115
	v_sub_f32_e32 v65, v74, v65
	v_sub_f32_e32 v124, v111, v115
	v_add_f32_e32 v125, v62, v66
	v_add_f32_e32 v126, v75, v112
	;; [unrolled: 1-line block ×5, first 2 shown]
	v_sub_f32_e32 v120, v73, v110
	v_sub_f32_e32 v127, v67, v117
	;; [unrolled: 1-line block ×4, first 2 shown]
	v_add_f32_e32 v131, v66, v116
	v_sub_f32_e32 v132, v75, v66
	v_sub_f32_e32 v66, v66, v116
	;; [unrolled: 1-line block ×5, first 2 shown]
	v_add_f32_e32 v73, v77, v73
	v_fma_f32 v77, -0.5, v78, v60
	v_add_f32_e32 v78, v101, v102
	v_fma_f32 v101, -0.5, v104, v60
	v_add_f32_e32 v60, v105, v106
	v_fma_f32 v102, -0.5, v119, v61
	v_fma_f32 v105, -0.5, v123, v61
	v_add_f32_e32 v61, v65, v124
	v_add_f32_e32 v65, v125, v75
	v_fma_f32 v75, -0.5, v126, v62
	v_add_f32_e32 v76, v134, v76
	v_fma_f32 v119, -0.5, v135, v63
	v_fmac_f32_e32 v63, -0.5, v139
	v_sub_f32_e32 v122, v115, v111
	v_sub_f32_e32 v130, v116, v112
	v_sub_f32_e32 v133, v112, v116
	v_sub_f32_e32 v138, v117, v113
	v_sub_f32_e32 v140, v113, v117
	v_add_f32_e32 v65, v65, v112
	v_fmamk_f32 v112, v127, 0xbf737871, v75
	v_add_f32_e32 v76, v76, v113
	v_fmamk_f32 v113, v66, 0x3f737871, v119
	v_fma_f32 v62, -0.5, v131, v62
	v_fmamk_f32 v125, v136, 0xbf737871, v63
	v_fmac_f32_e32 v63, 0x3f737871, v136
	v_sub_f32_e32 v80, v74, v111
	v_sub_f32_e32 v64, v64, v114
	v_add_f32_e32 v74, v118, v74
	v_fmac_f32_e32 v119, 0xbf737871, v66
	v_add_f32_e32 v104, v121, v122
	v_add_f32_e32 v106, v129, v130
	;; [unrolled: 1-line block ×4, first 2 shown]
	v_fmamk_f32 v110, v79, 0xbf737871, v77
	v_fmac_f32_e32 v77, 0x3f737871, v79
	v_fmac_f32_e32 v75, 0x3f737871, v127
	;; [unrolled: 1-line block ×4, first 2 shown]
	v_add_f32_e32 v67, v67, v140
	v_fmamk_f32 v124, v128, 0x3f737871, v62
	v_fmac_f32_e32 v62, 0xbf737871, v128
	v_fmac_f32_e32 v125, 0x3f167918, v66
	;; [unrolled: 1-line block ×3, first 2 shown]
	v_add_f32_e32 v74, v74, v111
	v_fmamk_f32 v111, v64, 0x3f737871, v102
	v_fmac_f32_e32 v102, 0xbf737871, v64
	v_fmac_f32_e32 v119, 0xbf167918, v136
	;; [unrolled: 1-line block ×7, first 2 shown]
	v_add_f32_e32 v118, v132, v133
	v_fmamk_f32 v122, v80, 0x3f737871, v101
	v_fmac_f32_e32 v101, 0xbf737871, v80
	v_fmamk_f32 v123, v120, 0xbf737871, v105
	v_fmac_f32_e32 v105, 0x3f737871, v120
	v_fmac_f32_e32 v124, 0xbf167918, v127
	;; [unrolled: 1-line block ×11, first 2 shown]
	v_mul_f32_e32 v78, 0xbf167918, v113
	v_mul_f32_e32 v106, 0x3f167918, v112
	v_fmac_f32_e32 v122, 0xbf167918, v79
	v_fmac_f32_e32 v101, 0x3f167918, v79
	v_add_f32_e32 v74, v74, v115
	v_fmac_f32_e32 v123, 0x3f167918, v64
	v_fmac_f32_e32 v105, 0xbf167918, v64
	v_add_f32_e32 v64, v65, v116
	v_add_f32_e32 v65, v76, v117
	v_fmac_f32_e32 v124, 0x3e9e377a, v118
	v_fmac_f32_e32 v62, 0x3e9e377a, v118
	v_mul_f32_e32 v79, 0xbf737871, v125
	v_mul_f32_e32 v80, 0xbf737871, v63
	;; [unrolled: 1-line block ×4, first 2 shown]
	v_fmac_f32_e32 v111, 0x3e9e377a, v104
	v_fmac_f32_e32 v102, 0x3e9e377a, v104
	v_mul_f32_e32 v104, 0xbf167918, v119
	v_mul_f32_e32 v118, 0xbf4f1bbd, v119
	v_add_f32_e32 v73, v73, v114
	v_fmac_f32_e32 v78, 0x3f4f1bbd, v112
	v_fmac_f32_e32 v106, 0x3f4f1bbd, v113
	;; [unrolled: 1-line block ×12, first 2 shown]
	v_add_f32_e32 v60, v73, v64
	v_add_f32_e32 v61, v74, v65
	;; [unrolled: 1-line block ×4, first 2 shown]
	v_sub_f32_e32 v66, v73, v64
	v_sub_f32_e32 v67, v74, v65
	v_add_f32_e32 v73, v122, v79
	v_add_f32_e32 v75, v101, v80
	;; [unrolled: 1-line block ×6, first 2 shown]
	v_sub_f32_e32 v110, v110, v78
	v_sub_f32_e32 v112, v122, v79
	;; [unrolled: 1-line block ×8, first 2 shown]
	ds_write_b128 v107, v[60:63]
	ds_write_b128 v107, v[73:76] offset:16
	ds_write_b128 v107, v[64:67] offset:32
	;; [unrolled: 1-line block ×4, first 2 shown]
	s_waitcnt lgkmcnt(0)
	s_barrier
	buffer_gl0_inv
	ds_read2_b64 v[64:67], v103 offset0:170 offset1:255
	ds_read2_b64 v[73:76], v72 offset0:84 offset1:169
	;; [unrolled: 1-line block ×4, first 2 shown]
	ds_read2_b64 v[60:63], v103 offset1:85
	s_waitcnt lgkmcnt(0)
	s_barrier
	buffer_gl0_inv
	v_mul_f32_e32 v77, v9, v65
	v_mul_f32_e32 v9, v9, v64
	;; [unrolled: 1-line block ×16, first 2 shown]
	v_fmac_f32_e32 v77, v8, v64
	v_fma_f32 v8, v8, v65, -v9
	v_fmac_f32_e32 v78, v10, v73
	v_fma_f32 v9, v10, v74, -v11
	;; [unrolled: 2-line block ×8, first 2 shown]
	v_add_f32_e32 v2, v60, v77
	v_add_f32_e32 v3, v78, v79
	v_sub_f32_e32 v14, v8, v5
	v_sub_f32_e32 v6, v77, v78
	;; [unrolled: 1-line block ×3, first 2 shown]
	v_add_f32_e32 v10, v77, v80
	v_sub_f32_e32 v13, v78, v77
	v_sub_f32_e32 v64, v79, v80
	v_add_f32_e32 v65, v61, v8
	v_add_f32_e32 v67, v9, v4
	v_sub_f32_e32 v76, v8, v9
	v_add_f32_e32 v104, v8, v5
	v_sub_f32_e32 v8, v9, v8
	v_sub_f32_e32 v105, v4, v5
	v_add_f32_e32 v106, v62, v101
	v_add_f32_e32 v107, v102, v114
	;; [unrolled: 1-line block ×6, first 2 shown]
	v_sub_f32_e32 v73, v9, v4
	v_sub_f32_e32 v74, v77, v80
	;; [unrolled: 1-line block ×12, first 2 shown]
	v_add_f32_e32 v2, v2, v78
	v_fma_f32 v12, -0.5, v3, v60
	v_add_f32_e32 v78, v6, v7
	v_fma_f32 v66, -0.5, v10, v60
	v_add_f32_e32 v60, v13, v64
	v_add_f32_e32 v3, v65, v9
	v_fma_f32 v13, -0.5, v67, v61
	v_fma_f32 v67, -0.5, v104, v61
	v_add_f32_e32 v61, v8, v105
	v_add_f32_e32 v8, v106, v102
	v_fma_f32 v6, -0.5, v107, v62
	v_fma_f32 v62, -0.5, v116, v62
	v_add_f32_e32 v1, v119, v1
	v_fma_f32 v7, -0.5, v120, v63
	v_fmac_f32_e32 v63, -0.5, v124
	v_sub_f32_e32 v77, v5, v4
	v_sub_f32_e32 v113, v115, v114
	v_sub_f32_e32 v118, v114, v115
	v_sub_f32_e32 v123, v15, v11
	v_add_f32_e32 v105, v0, v125
	v_add_f32_e32 v0, v2, v79
	v_fmamk_f32 v2, v14, 0xbf737871, v12
	v_fmac_f32_e32 v12, 0x3f737871, v14
	v_fmamk_f32 v64, v73, 0x3f737871, v66
	v_fmac_f32_e32 v66, 0xbf737871, v73
	v_add_f32_e32 v4, v3, v4
	v_fmamk_f32 v3, v74, 0x3f737871, v13
	v_fmac_f32_e32 v13, 0xbf737871, v74
	v_fmamk_f32 v65, v75, 0xbf737871, v67
	v_fmac_f32_e32 v67, 0x3f737871, v75
	;; [unrolled: 5-line block ×4, first 2 shown]
	v_add_f32_e32 v76, v76, v77
	v_add_f32_e32 v77, v112, v113
	;; [unrolled: 1-line block ×4, first 2 shown]
	v_fmac_f32_e32 v2, 0xbf167918, v73
	v_fmac_f32_e32 v12, 0x3f167918, v73
	v_fmac_f32_e32 v64, 0xbf167918, v14
	v_fmac_f32_e32 v66, 0x3f167918, v14
	v_fmac_f32_e32 v3, 0x3f167918, v75
	v_fmac_f32_e32 v13, 0xbf167918, v75
	v_fmac_f32_e32 v65, 0x3f167918, v74
	v_fmac_f32_e32 v67, 0xbf167918, v74
	v_fmac_f32_e32 v8, 0xbf167918, v111
	v_fmac_f32_e32 v6, 0x3f167918, v111
	v_fmac_f32_e32 v10, 0xbf167918, v110
	v_fmac_f32_e32 v62, 0x3f167918, v110
	v_fmac_f32_e32 v9, 0x3f167918, v121
	v_fmac_f32_e32 v7, 0xbf167918, v121
	v_fmac_f32_e32 v11, 0x3f167918, v101
	v_fmac_f32_e32 v63, 0xbf167918, v101
	v_add_f32_e32 v0, v0, v80
	v_add_f32_e32 v1, v4, v5
	;; [unrolled: 1-line block ×4, first 2 shown]
	v_fmac_f32_e32 v2, 0x3e9e377a, v78
	v_fmac_f32_e32 v12, 0x3e9e377a, v78
	;; [unrolled: 1-line block ×16, first 2 shown]
	ds_write2_b64 v109, v[0:1], v[2:3] offset1:10
	ds_write2_b64 v109, v[64:65], v[66:67] offset0:20 offset1:30
	ds_write_b64 v109, v[12:13] offset:320
	ds_write2_b64 v108, v[14:15], v[8:9] offset1:10
	ds_write2_b64 v108, v[10:11], v[62:63] offset0:20 offset1:30
	ds_write_b64 v108, v[6:7] offset:320
	s_waitcnt lgkmcnt(0)
	s_barrier
	buffer_gl0_inv
	s_and_saveexec_b32 s0, vcc_lo
	s_cbranch_execz .LBB0_7
; %bb.6:
	ds_read2_b64 v[0:3], v103 offset1:50
	ds_read2_b64 v[64:67], v103 offset0:100 offset1:150
	ds_read2_b64 v[4:7], v72 offset0:144 offset1:194
	;; [unrolled: 1-line block ×7, first 2 shown]
	ds_read_b64 v[68:69], v103 offset:6400
	s_waitcnt lgkmcnt(6)
	v_mov_b32_e32 v62, v4
	v_mov_b32_e32 v63, v5
.LBB0_7:
	s_or_b32 exec_lo, exec_lo, s0
	s_and_saveexec_b32 s0, vcc_lo
	s_cbranch_execz .LBB0_9
; %bb.8:
	s_waitcnt lgkmcnt(0)
	v_mul_f32_e32 v4, v47, v68
	v_mul_f32_e32 v5, v29, v2
	;; [unrolled: 1-line block ×5, first 2 shown]
	v_fma_f32 v60, v46, v69, -v4
	v_fma_f32 v69, v28, v3, -v5
	v_mul_f32_e32 v3, v45, v50
	v_mul_f32_e32 v4, v31, v64
	v_fmac_f32_e32 v61, v28, v2
	v_fmac_f32_e32 v47, v46, v68
	v_add_f32_e32 v104, v60, v69
	v_fma_f32 v46, v44, v51, -v3
	v_fma_f32 v68, v30, v65, -v4
	v_mul_f32_e32 v65, v31, v65
	v_mul_f32_e32 v45, v45, v51
	;; [unrolled: 1-line block ×5, first 2 shown]
	v_sub_f32_e32 v29, v61, v47
	v_add_f32_e32 v109, v46, v68
	v_fmac_f32_e32 v65, v30, v64
	v_fmac_f32_e32 v45, v44, v50
	v_fma_f32 v44, v42, v49, -v3
	v_fma_f32 v70, v20, v67, -v4
	v_mul_f32_e32 v64, v21, v67
	v_mul_f32_e32 v43, v43, v49
	;; [unrolled: 1-line block ×4, first 2 shown]
	v_fmamk_f32 v2, v29, 0x3e3c28d5, v51
	v_mul_f32_e32 v50, 0x3f6eb680, v109
	v_sub_f32_e32 v28, v65, v45
	v_add_f32_e32 v129, v44, v70
	v_fmac_f32_e32 v64, v20, v66
	v_fmac_f32_e32 v43, v42, v48
	v_fma_f32 v48, v40, v55, -v3
	v_fma_f32 v67, v22, v13, -v4
	v_mul_f32_e32 v66, v23, v13
	v_mul_f32_e32 v41, v41, v55
	v_add_f32_e32 v2, v1, v2
	v_fmamk_f32 v5, v28, 0xbeb8f4ab, v50
	v_mul_f32_e32 v42, 0xbf59a7d5, v129
	v_sub_f32_e32 v20, v64, v43
	v_add_f32_e32 v139, v48, v67
	v_fmac_f32_e32 v66, v22, v12
	v_fmac_f32_e32 v41, v40, v54
	v_add_f32_e32 v2, v5, v2
	v_fmamk_f32 v3, v20, 0x3f06c442, v42
	v_mul_f32_e32 v40, 0x3f3d2fb0, v139
	v_mul_f32_e32 v4, v39, v52
	v_sub_f32_e32 v21, v66, v41
	v_mul_f32_e32 v5, v33, v14
	v_add_f32_e32 v2, v3, v2
	v_mul_f32_e32 v54, v33, v15
	v_fma_f32 v49, v38, v53, -v4
	v_fmamk_f32 v3, v21, 0xbf2c7751, v40
	v_fma_f32 v55, v32, v15, -v5
	v_mul_f32_e32 v39, v39, v53
	v_mul_f32_e32 v4, v35, v8
	v_fmac_f32_e32 v54, v32, v14
	v_add_f32_e32 v2, v3, v2
	v_mul_f32_e32 v3, v37, v58
	v_add_f32_e32 v164, v49, v55
	v_fmac_f32_e32 v39, v38, v52
	v_fma_f32 v72, v34, v9, -v4
	v_mul_f32_e32 v38, v37, v59
	v_fma_f32 v52, v36, v59, -v3
	v_mul_f32_e32 v3, v27, v56
	v_mul_f32_e32 v4, v17, v10
	;; [unrolled: 1-line block ×3, first 2 shown]
	v_sub_f32_e32 v22, v54, v39
	v_add_f32_e32 v171, v52, v72
	v_fmac_f32_e32 v71, v34, v8
	v_fmac_f32_e32 v38, v36, v58
	v_fma_f32 v73, v26, v57, -v3
	v_fma_f32 v105, v16, v11, -v4
	v_mul_f32_e32 v17, v17, v11
	v_mul_f32_e32 v74, v27, v57
	v_fmamk_f32 v5, v22, 0x3f4c4adb, v35
	v_mul_f32_e32 v34, 0x3ee437d1, v171
	v_sub_f32_e32 v23, v71, v38
	v_add_f32_e32 v123, v73, v105
	v_fmac_f32_e32 v17, v16, v10
	v_fmac_f32_e32 v74, v26, v56
	v_sub_f32_e32 v14, v69, v60
	v_add_f32_e32 v2, v5, v2
	v_fmamk_f32 v3, v23, 0xbf65296c, v34
	v_mul_f32_e32 v4, v25, v6
	v_mul_f32_e32 v36, 0xbe8c1d8e, v123
	v_sub_f32_e32 v26, v17, v74
	v_add_f32_e32 v27, v47, v61
	v_mul_f32_e32 v57, 0xbe3c28d5, v14
	v_sub_f32_e32 v167, v68, v46
	v_fma_f32 v16, v24, v7, -v4
	v_add_f32_e32 v2, v3, v2
	v_fmamk_f32 v3, v26, 0x3f763a35, v36
	v_fmamk_f32 v4, v27, 0xbf7ba420, v57
	v_add_f32_e32 v30, v45, v65
	v_mul_f32_e32 v58, 0x3eb8f4ab, v167
	v_sub_f32_e32 v172, v70, v44
	v_mul_f32_e32 v5, v19, v62
	v_add_f32_e32 v2, v3, v2
	v_add_f32_e32 v3, v0, v4
	v_fmamk_f32 v4, v30, 0x3f6eb680, v58
	v_add_f32_e32 v31, v43, v64
	v_mul_f32_e32 v75, 0xbf06c442, v172
	v_sub_f32_e32 v173, v67, v48
	v_fma_f32 v136, v18, v63, -v5
	v_mul_f32_e32 v156, v19, v63
	v_mul_f32_e32 v157, v25, v7
	v_add_f32_e32 v3, v4, v3
	v_fmamk_f32 v4, v31, 0xbf59a7d5, v75
	v_add_f32_e32 v19, v41, v66
	v_mul_f32_e32 v78, 0x3f2c7751, v173
	v_sub_f32_e32 v174, v55, v49
	v_add_f32_e32 v147, v16, v136
	v_fmac_f32_e32 v156, v18, v62
	v_fmac_f32_e32 v157, v24, v6
	v_add_f32_e32 v3, v4, v3
	v_fmamk_f32 v4, v19, 0x3f3d2fb0, v78
	v_add_f32_e32 v24, v39, v54
	v_mul_f32_e32 v63, 0xbf4c4adb, v174
	v_sub_f32_e32 v179, v72, v52
	v_mul_f32_e32 v107, 0xbf59a7d5, v104
	v_mul_f32_e32 v37, 0x3dbcf732, v147
	v_sub_f32_e32 v18, v156, v157
	v_add_f32_e32 v3, v4, v3
	v_fmamk_f32 v4, v24, 0xbf1a4643, v63
	v_add_f32_e32 v25, v38, v71
	v_mul_f32_e32 v102, 0x3f65296c, v179
	v_fmamk_f32 v5, v29, 0x3f06c442, v107
	v_mul_f32_e32 v108, 0x3ee437d1, v109
	v_fmamk_f32 v6, v18, 0xbf7ee86f, v37
	v_add_f32_e32 v4, v4, v3
	v_fmamk_f32 v7, v25, 0x3ee437d1, v102
	v_add_f32_e32 v5, v1, v5
	v_fmamk_f32 v8, v28, 0xbf65296c, v108
	v_mul_f32_e32 v76, 0x3dbcf732, v129
	v_add_f32_e32 v3, v6, v2
	v_add_f32_e32 v2, v7, v4
	v_sub_f32_e32 v193, v105, v73
	v_add_f32_e32 v4, v8, v5
	v_fmamk_f32 v5, v20, 0x3f7ee86f, v76
	v_mul_f32_e32 v77, 0xbf1a4643, v139
	v_add_f32_e32 v32, v74, v17
	v_mul_f32_e32 v79, 0xbf763a35, v193
	v_sub_f32_e32 v192, v136, v16
	v_add_f32_e32 v4, v5, v4
	v_fmamk_f32 v5, v21, 0xbf4c4adb, v77
	v_mul_f32_e32 v53, 0x3f6eb680, v164
	v_fmamk_f32 v6, v32, 0xbe8c1d8e, v79
	v_add_f32_e32 v33, v157, v156
	v_mul_f32_e32 v101, 0x3f7ee86f, v192
	v_add_f32_e32 v4, v5, v4
	v_fmamk_f32 v5, v22, 0x3eb8f4ab, v53
	v_mul_f32_e32 v56, 0xbf7ba420, v171
	v_add_f32_e32 v2, v6, v2
	v_fmamk_f32 v6, v33, 0x3dbcf732, v101
	v_mul_f32_e32 v117, 0xbf06c442, v14
	v_add_f32_e32 v4, v5, v4
	v_fmamk_f32 v5, v23, 0x3e3c28d5, v56
	v_mul_f32_e32 v59, 0x3f3d2fb0, v123
	v_add_f32_e32 v2, v6, v2
	v_fmamk_f32 v6, v27, 0xbf59a7d5, v117
	v_mul_f32_e32 v118, 0x3f65296c, v167
	v_add_f32_e32 v4, v5, v4
	v_fmamk_f32 v5, v26, 0xbf2c7751, v59
	v_mul_f32_e32 v62, 0xbe8c1d8e, v147
	v_add_f32_e32 v6, v0, v6
	v_fmamk_f32 v7, v30, 0x3ee437d1, v118
	v_mul_f32_e32 v119, 0xbf7ee86f, v172
	v_add_f32_e32 v4, v5, v4
	v_fmamk_f32 v5, v18, 0x3f763a35, v62
	v_mul_f32_e32 v120, 0xbf1a4643, v104
	v_add_f32_e32 v6, v7, v6
	v_fmamk_f32 v7, v31, 0x3dbcf732, v119
	v_mul_f32_e32 v130, 0x3f4c4adb, v173
	v_add_f32_e32 v5, v5, v4
	v_fmamk_f32 v4, v29, 0x3f4c4adb, v120
	v_mul_f32_e32 v121, 0xbe8c1d8e, v109
	v_add_f32_e32 v6, v7, v6
	v_fmamk_f32 v7, v19, 0xbf1a4643, v130
	v_mul_f32_e32 v131, 0xbeb8f4ab, v174
	v_add_f32_e32 v4, v1, v4
	v_fmamk_f32 v8, v28, 0xbf763a35, v121
	v_mul_f32_e32 v122, 0x3f6eb680, v129
	v_add_f32_e32 v6, v7, v6
	v_fmamk_f32 v7, v24, 0x3f6eb680, v131
	v_mul_f32_e32 v132, 0xbe3c28d5, v179
	v_add_f32_e32 v4, v8, v4
	v_fmamk_f32 v8, v20, 0x3eb8f4ab, v122
	v_mul_f32_e32 v112, 0xbf59a7d5, v139
	v_add_f32_e32 v6, v7, v6
	v_fmamk_f32 v7, v25, 0xbf7ba420, v132
	v_mul_f32_e32 v114, 0x3f2c7751, v193
	v_add_f32_e32 v4, v8, v4
	v_fmamk_f32 v8, v21, 0x3f06c442, v112
	v_mul_f32_e32 v113, 0x3dbcf732, v164
	v_add_f32_e32 v6, v7, v6
	v_fmamk_f32 v7, v32, 0x3f3d2fb0, v114
	v_mul_f32_e32 v115, 0xbf763a35, v192
	v_add_f32_e32 v4, v8, v4
	v_fmamk_f32 v8, v22, 0xbf7ee86f, v113
	v_mul_f32_e32 v106, 0x3f3d2fb0, v171
	v_add_f32_e32 v69, v69, v1
	v_add_f32_e32 v6, v7, v6
	v_fmamk_f32 v7, v33, 0xbe8c1d8e, v115
	v_mul_f32_e32 v143, 0xbf4c4adb, v14
	v_add_f32_e32 v8, v8, v4
	v_fmamk_f32 v9, v23, 0x3f2c7751, v106
	v_mul_f32_e32 v110, 0xbf7ba420, v123
	v_add_f32_e32 v68, v68, v69
	v_add_f32_e32 v61, v0, v61
	;; [unrolled: 1-line block ×3, first 2 shown]
	v_fmamk_f32 v6, v27, 0xbf1a4643, v143
	v_mul_f32_e32 v144, 0x3f763a35, v167
	v_add_f32_e32 v7, v9, v8
	v_fmamk_f32 v8, v26, 0x3e3c28d5, v110
	v_mul_f32_e32 v111, 0x3ee437d1, v147
	v_mul_f32_e32 v69, 0xbeb8f4ab, v14
	v_add_f32_e32 v68, v70, v68
	v_add_f32_e32 v65, v65, v61
	v_add_f32_e32 v6, v0, v6
	v_fmamk_f32 v9, v30, 0xbe8c1d8e, v144
	v_mul_f32_e32 v145, 0xbeb8f4ab, v172
	v_add_f32_e32 v7, v8, v7
	v_fmamk_f32 v8, v18, 0xbf65296c, v111
	v_mul_f32_e32 v148, 0xbe8c1d8e, v104
	v_mul_f32_e32 v169, 0x3f06c442, v167
	;; [unrolled: 1-line block ×5, first 2 shown]
	v_fmamk_f32 v70, v27, 0x3f6eb680, v69
	v_mul_f32_e32 v167, 0xbf2c7751, v167
	v_add_f32_e32 v67, v67, v68
	v_add_f32_e32 v64, v64, v65
	;; [unrolled: 1-line block ×3, first 2 shown]
	v_fmamk_f32 v9, v31, 0x3f6eb680, v145
	v_mul_f32_e32 v152, 0xbf06c442, v173
	v_add_f32_e32 v7, v8, v7
	v_fmamk_f32 v8, v29, 0x3f763a35, v148
	v_mul_f32_e32 v149, 0xbf59a7d5, v109
	v_add_f32_e32 v65, v0, v70
	;; [unrolled: 3-line block ×3, first 2 shown]
	v_add_f32_e32 v64, v66, v64
	v_add_f32_e32 v6, v9, v6
	v_fmamk_f32 v9, v19, 0xbf59a7d5, v152
	v_mul_f32_e32 v153, 0x3f7ee86f, v174
	v_add_f32_e32 v8, v1, v8
	v_fmamk_f32 v10, v28, 0xbf06c442, v149
	v_mul_f32_e32 v124, 0x3f3d2fb0, v129
	v_add_f32_e32 v65, v68, v65
	v_fmamk_f32 v67, v31, 0x3ee437d1, v70
	v_add_f32_e32 v55, v72, v55
	v_add_f32_e32 v54, v54, v64
	;; [unrolled: 1-line block ×3, first 2 shown]
	v_fmamk_f32 v9, v24, 0x3dbcf732, v153
	v_mul_f32_e32 v134, 0xbf2c7751, v179
	v_add_f32_e32 v8, v10, v8
	v_fmamk_f32 v10, v20, 0xbf2c7751, v124
	v_mul_f32_e32 v127, 0x3ee437d1, v139
	v_add_f32_e32 v65, v67, v65
	v_add_f32_e32 v55, v105, v55
	;; [unrolled: 1-line block ×4, first 2 shown]
	v_fmamk_f32 v9, v25, 0x3f3d2fb0, v134
	v_mul_f32_e32 v135, 0xbe3c28d5, v193
	v_add_f32_e32 v8, v10, v8
	v_fmamk_f32 v10, v21, 0x3f65296c, v127
	v_mul_f32_e32 v133, 0xbf7ba420, v164
	v_add_f32_e32 v55, v136, v55
	v_add_f32_e32 v17, v17, v67
	v_add_f32_e32 v6, v9, v6
	v_fmamk_f32 v9, v32, 0xbf7ba420, v135
	v_mul_f32_e32 v137, 0x3f65296c, v192
	v_add_f32_e32 v8, v10, v8
	v_fmamk_f32 v10, v22, 0x3e3c28d5, v133
	v_mul_f32_e32 v116, 0x3dbcf732, v171
	v_add_f32_e32 v16, v16, v55
	v_add_f32_e32 v17, v156, v17
	v_add_f32_e32 v6, v9, v6
	;; [unrolled: 8-line block ×3, first 2 shown]
	v_fmamk_f32 v9, v27, 0xbe8c1d8e, v168
	v_add_f32_e32 v8, v10, v8
	v_fmamk_f32 v10, v26, 0x3eb8f4ab, v125
	v_mul_f32_e32 v126, 0xbf1a4643, v147
	v_add_f32_e32 v16, v52, v16
	v_add_f32_e32 v52, v74, v72
	v_fmac_f32_e32 v51, 0xbe3c28d5, v29
	v_add_f32_e32 v9, v0, v9
	v_fmamk_f32 v11, v30, 0xbf59a7d5, v169
	v_mul_f32_e32 v170, 0x3f2c7751, v172
	v_add_f32_e32 v8, v10, v8
	v_fmamk_f32 v10, v18, 0x3f4c4adb, v126
	v_mul_f32_e32 v165, 0x3dbcf732, v104
	v_add_f32_e32 v16, v49, v16
	v_add_f32_e32 v38, v38, v52
	;; [unrolled: 1-line block ×3, first 2 shown]
	v_fmac_f32_e32 v50, 0x3eb8f4ab, v28
	v_add_f32_e32 v11, v11, v9
	v_fmamk_f32 v12, v31, 0x3f3d2fb0, v170
	v_mul_f32_e32 v181, 0xbf65296c, v173
	v_add_f32_e32 v9, v10, v8
	v_fmamk_f32 v8, v29, 0x3f7ee86f, v165
	v_mul_f32_e32 v166, 0xbf7ba420, v109
	v_add_f32_e32 v38, v39, v38
	v_add_f32_e32 v39, v50, v49
	v_fmac_f32_e32 v42, 0xbf06c442, v20
	v_fma_f32 v49, 0xbf7ba420, v27, -v57
	v_add_f32_e32 v10, v12, v11
	v_fmamk_f32 v11, v19, 0x3ee437d1, v181
	v_mul_f32_e32 v175, 0xbe3c28d5, v174
	v_add_f32_e32 v8, v1, v8
	v_fmamk_f32 v12, v28, 0x3e3c28d5, v166
	v_mul_f32_e32 v150, 0xbe8c1d8e, v129
	v_add_f32_e32 v38, v41, v38
	v_add_f32_e32 v39, v42, v39
	v_fmac_f32_e32 v40, 0x3f2c7751, v21
	v_add_f32_e32 v41, v0, v49
	v_fma_f32 v42, 0x3f6eb680, v30, -v58
	v_add_f32_e32 v10, v11, v10
	v_fmamk_f32 v11, v24, 0xbf7ba420, v175
	v_mul_f32_e32 v176, 0x3f7ee86f, v179
	v_add_f32_e32 v8, v12, v8
	v_fmamk_f32 v12, v20, 0xbf763a35, v150
	v_mul_f32_e32 v151, 0x3f6eb680, v139
	v_add_f32_e32 v40, v40, v39
	v_fmac_f32_e32 v35, 0xbf4c4adb, v22
	v_add_f32_e32 v41, v42, v41
	v_fma_f32 v42, 0xbf59a7d5, v31, -v75
	v_add_f32_e32 v10, v11, v10
	v_fmamk_f32 v11, v25, 0x3dbcf732, v176
	v_mul_f32_e32 v162, 0xbeb8f4ab, v193
	v_add_f32_e32 v8, v12, v8
	v_fmamk_f32 v12, v21, 0xbeb8f4ab, v151
	v_mul_f32_e32 v140, 0x3ee437d1, v164
	v_add_f32_e32 v35, v35, v40
	v_fmac_f32_e32 v34, 0x3f65296c, v23
	v_add_f32_e32 v40, v42, v41
	v_fma_f32 v41, 0x3f3d2fb0, v19, -v78
	v_fmac_f32_e32 v107, 0xbf06c442, v29
	v_add_f32_e32 v10, v11, v10
	v_fmamk_f32 v11, v32, 0x3f6eb680, v162
	v_mul_f32_e32 v163, 0xbf4c4adb, v192
	v_add_f32_e32 v8, v12, v8
	v_fmamk_f32 v12, v22, 0x3f65296c, v140
	v_mul_f32_e32 v141, 0xbf59a7d5, v171
	v_add_f32_e32 v34, v34, v35
	v_fmac_f32_e32 v36, 0xbf763a35, v26
	v_add_f32_e32 v35, v41, v40
	v_fma_f32 v40, 0xbf1a4643, v24, -v63
	v_add_f32_e32 v41, v1, v107
	v_fmac_f32_e32 v108, 0x3f65296c, v28
	v_add_f32_e32 v10, v11, v10
	v_fmamk_f32 v11, v33, 0xbf1a4643, v163
	v_mul_f32_e32 v180, 0xbf7ee86f, v14
	v_add_f32_e32 v12, v12, v8
	v_fmamk_f32 v13, v23, 0x3f06c442, v141
	v_mul_f32_e32 v146, 0xbf1a4643, v123
	v_add_f32_e32 v34, v36, v34
	v_fmac_f32_e32 v37, 0x3f7ee86f, v18
	v_add_f32_e32 v36, v40, v35
	v_fma_f32 v40, 0x3ee437d1, v25, -v102
	v_add_f32_e32 v41, v108, v41
	v_fmac_f32_e32 v76, 0xbf7ee86f, v20
	v_add_f32_e32 v8, v11, v10
	v_fmamk_f32 v10, v27, 0x3dbcf732, v180
	v_add_f32_e32 v11, v13, v12
	v_fmamk_f32 v12, v26, 0xbf4c4adb, v146
	v_mul_f32_e32 v128, 0x3f3d2fb0, v147
	v_add_f32_e32 v35, v37, v34
	v_fma_f32 v34, 0xbf59a7d5, v27, -v117
	v_add_f32_e32 v36, v40, v36
	v_fma_f32 v37, 0xbe8c1d8e, v32, -v79
	v_add_f32_e32 v40, v76, v41
	v_fmac_f32_e32 v77, 0x3f4c4adb, v21
	v_add_f32_e32 v10, v0, v10
	v_fmamk_f32 v13, v30, 0xbf7ba420, v182
	v_mul_f32_e32 v183, 0x3f763a35, v172
	v_add_f32_e32 v11, v12, v11
	v_fmamk_f32 v12, v18, 0xbf2c7751, v128
	v_mul_f32_e32 v184, 0x3ee437d1, v104
	v_add_f32_e32 v34, v0, v34
	v_fma_f32 v41, 0x3ee437d1, v30, -v118
	v_add_f32_e32 v36, v37, v36
	v_fma_f32 v37, 0x3dbcf732, v33, -v101
	v_add_f32_e32 v40, v77, v40
	v_fmac_f32_e32 v53, 0xbeb8f4ab, v22
	v_add_f32_e32 v10, v13, v10
	v_fmamk_f32 v13, v31, 0xbe8c1d8e, v183
	v_mul_f32_e32 v189, 0x3eb8f4ab, v173
	v_add_f32_e32 v11, v12, v11
	v_fmamk_f32 v12, v29, 0x3f65296c, v184
	v_mul_f32_e32 v185, 0xbf1a4643, v109
	v_add_f32_e32 v41, v41, v34
	v_fma_f32 v42, 0x3dbcf732, v31, -v119
	v_add_f32_e32 v34, v37, v36
	v_fmac_f32_e32 v120, 0xbf4c4adb, v29
	v_add_f32_e32 v36, v53, v40
	v_fmac_f32_e32 v56, 0xbe3c28d5, v23
	v_add_f32_e32 v10, v13, v10
	v_fmamk_f32 v13, v19, 0x3f6eb680, v189
	v_mul_f32_e32 v190, 0xbf65296c, v174
	v_add_f32_e32 v12, v1, v12
	v_fmamk_f32 v15, v28, 0x3f4c4adb, v185
	v_mul_f32_e32 v186, 0xbf7ba420, v129
	v_add_f32_e32 v37, v42, v41
	v_fma_f32 v40, 0xbf1a4643, v19, -v130
	v_add_f32_e32 v41, v1, v120
	v_fmac_f32_e32 v121, 0x3f763a35, v28
	v_add_f32_e32 v36, v56, v36
	v_fmac_f32_e32 v59, 0x3f2c7751, v26
	v_add_f32_e32 v10, v13, v10
	v_fmamk_f32 v13, v24, 0x3ee437d1, v190
	v_mul_f32_e32 v191, 0xbf06c442, v179
	v_add_f32_e32 v12, v15, v12
	v_fmamk_f32 v15, v20, 0xbe3c28d5, v186
	v_mul_f32_e32 v161, 0xbe8c1d8e, v139
	v_add_f32_e32 v48, v48, v16
	v_add_f32_e32 v37, v40, v37
	v_fma_f32 v40, 0x3f6eb680, v24, -v131
	v_add_f32_e32 v41, v121, v41
	v_fmac_f32_e32 v122, 0xbeb8f4ab, v20
	v_add_f32_e32 v36, v59, v36
	v_fmac_f32_e32 v62, 0xbf763a35, v18
	v_add_f32_e32 v10, v13, v10
	v_fmamk_f32 v13, v25, 0xbf59a7d5, v191
	v_mul_f32_e32 v158, 0x3f4c4adb, v193
	v_add_f32_e32 v12, v15, v12
	v_fmamk_f32 v15, v21, 0xbf763a35, v161
	v_mul_f32_e32 v159, 0x3f3d2fb0, v164
	v_add_f32_e32 v44, v44, v48
	v_add_f32_e32 v40, v40, v37
	v_fma_f32 v42, 0xbf7ba420, v25, -v132
	v_add_f32_e32 v41, v122, v41
	v_fmac_f32_e32 v112, 0xbf06c442, v21
	v_add_f32_e32 v37, v62, v36
	v_fma_f32 v36, 0xbf1a4643, v27, -v143
	v_add_f32_e32 v10, v13, v10
	v_fmamk_f32 v13, v32, 0xbf1a4643, v158
	v_mul_f32_e32 v142, 0x3f2c7751, v192
	v_add_f32_e32 v12, v15, v12
	v_fmamk_f32 v15, v22, 0xbf2c7751, v159
	v_mul_f32_e32 v154, 0x3f6eb680, v171
	v_add_f32_e32 v44, v46, v44
	v_add_f32_e32 v38, v43, v38
	;; [unrolled: 1-line block ×3, first 2 shown]
	v_fma_f32 v42, 0x3f3d2fb0, v32, -v114
	v_add_f32_e32 v41, v112, v41
	v_fmac_f32_e32 v113, 0x3f7ee86f, v22
	v_add_f32_e32 v36, v0, v36
	v_fma_f32 v43, 0xbe8c1d8e, v30, -v144
	v_add_f32_e32 v10, v13, v10
	v_fmamk_f32 v13, v33, 0x3f3d2fb0, v142
	v_mul_f32_e32 v194, 0xbf65296c, v14
	v_add_f32_e32 v12, v15, v12
	v_fmamk_f32 v15, v23, 0x3eb8f4ab, v154
	v_mul_f32_e32 v160, 0x3dbcf732, v123
	v_add_f32_e32 v39, v60, v44
	v_add_f32_e32 v40, v42, v40
	v_fma_f32 v42, 0xbe8c1d8e, v33, -v115
	v_add_f32_e32 v41, v113, v41
	v_fmac_f32_e32 v106, 0xbf2c7751, v23
	v_add_f32_e32 v43, v43, v36
	v_fma_f32 v44, 0x3f6eb680, v31, -v145
	v_fmac_f32_e32 v148, 0xbf763a35, v29
	v_add_f32_e32 v10, v13, v10
	v_fmamk_f32 v13, v27, 0x3ee437d1, v194
	v_add_f32_e32 v12, v15, v12
	v_fmamk_f32 v15, v26, 0x3f7ee86f, v160
	v_mul_f32_e32 v155, 0xbf59a7d5, v147
	v_add_f32_e32 v36, v42, v40
	v_add_f32_e32 v40, v106, v41
	v_fmac_f32_e32 v110, 0xbe3c28d5, v26
	v_add_f32_e32 v41, v44, v43
	v_fma_f32 v42, 0xbf59a7d5, v19, -v152
	v_add_f32_e32 v43, v1, v148
	v_fmac_f32_e32 v149, 0x3f06c442, v28
	v_add_f32_e32 v13, v0, v13
	v_fmamk_f32 v80, v30, 0xbf1a4643, v187
	v_mul_f32_e32 v188, 0x3e3c28d5, v172
	v_add_f32_e32 v12, v15, v12
	v_fmamk_f32 v15, v18, 0x3f06c442, v155
	v_mul_f32_e32 v205, 0x3f3d2fb0, v104
	v_add_f32_e32 v40, v110, v40
	v_fmac_f32_e32 v111, 0x3f65296c, v18
	v_add_f32_e32 v42, v42, v41
	v_fma_f32 v44, 0x3dbcf732, v24, -v153
	v_add_f32_e32 v43, v149, v43
	v_fmac_f32_e32 v124, 0x3f2c7751, v20
	v_add_f32_e32 v80, v80, v13
	v_fmamk_f32 v138, v31, 0xbf7ba420, v188
	v_mul_f32_e32 v196, 0x3f763a35, v173
	v_add_f32_e32 v13, v15, v12
	v_fmamk_f32 v12, v29, 0x3f2c7751, v205
	v_mul_f32_e32 v206, 0x3dbcf732, v109
	v_add_f32_e32 v41, v111, v40
	v_fma_f32 v40, 0xbe8c1d8e, v27, -v168
	v_add_f32_e32 v42, v44, v42
	v_fma_f32 v44, 0x3f3d2fb0, v25, -v134
	v_add_f32_e32 v43, v124, v43
	v_fmac_f32_e32 v127, 0xbf65296c, v21
	v_add_f32_e32 v15, v138, v80
	v_fmamk_f32 v80, v19, 0xbe8c1d8e, v196
	v_mul_f32_e32 v197, 0x3f2c7751, v174
	v_add_f32_e32 v12, v1, v12
	v_fmamk_f32 v138, v28, 0x3f7ee86f, v206
	v_mul_f32_e32 v207, 0xbf1a4643, v129
	v_add_f32_e32 v38, v45, v38
	v_add_f32_e32 v40, v0, v40
	v_fma_f32 v45, 0xbf59a7d5, v30, -v169
	v_add_f32_e32 v42, v44, v42
	v_fma_f32 v44, 0xbf7ba420, v32, -v135
	v_add_f32_e32 v43, v127, v43
	v_fmac_f32_e32 v133, 0xbe3c28d5, v22
	v_add_f32_e32 v15, v80, v15
	v_fmamk_f32 v80, v24, 0x3f3d2fb0, v197
	v_mul_f32_e32 v198, 0xbeb8f4ab, v179
	v_add_f32_e32 v12, v138, v12
	v_fmamk_f32 v138, v20, 0x3f4c4adb, v207
	v_mul_f32_e32 v208, 0xbf7ba420, v139
	v_add_f32_e32 v40, v45, v40
	v_fma_f32 v45, 0x3f3d2fb0, v31, -v170
	v_add_f32_e32 v42, v44, v42
	v_fma_f32 v44, 0x3ee437d1, v33, -v137
	v_add_f32_e32 v43, v133, v43
	v_fmac_f32_e32 v116, 0x3f7ee86f, v23
	v_add_f32_e32 v15, v80, v15
	v_fmamk_f32 v80, v25, 0x3f6eb680, v198
	v_mul_f32_e32 v199, 0xbf7ee86f, v193
	v_add_f32_e32 v12, v138, v12
	v_fmamk_f32 v138, v21, 0x3e3c28d5, v208
	v_mul_f32_e32 v209, 0xbf59a7d5, v164
	v_add_f32_e32 v45, v45, v40
	v_fma_f32 v46, 0x3ee437d1, v19, -v181
	v_add_f32_e32 v40, v44, v42
	v_fmac_f32_e32 v165, 0xbf7ee86f, v29
	v_add_f32_e32 v42, v116, v43
	v_fmac_f32_e32 v125, 0xbeb8f4ab, v26
	v_add_f32_e32 v15, v80, v15
	v_fmamk_f32 v80, v32, 0x3dbcf732, v199
	v_mul_f32_e32 v200, 0xbf06c442, v192
	v_add_f32_e32 v12, v138, v12
	v_fmamk_f32 v138, v22, 0xbf06c442, v209
	v_mul_f32_e32 v210, 0xbe8c1d8e, v171
	v_add_f32_e32 v43, v46, v45
	v_fma_f32 v44, 0xbf7ba420, v24, -v175
	v_add_f32_e32 v45, v1, v165
	v_fmac_f32_e32 v166, 0xbe3c28d5, v28
	v_add_f32_e32 v42, v125, v42
	v_fmac_f32_e32 v126, 0xbf4c4adb, v18
	v_add_f32_e32 v15, v80, v15
	v_fmamk_f32 v80, v33, 0xbf59a7d5, v200
	v_mul_f32_e32 v211, 0xbf2c7751, v14
	v_add_f32_e32 v138, v138, v12
	v_fmamk_f32 v178, v23, 0xbf763a35, v210
	v_mul_f32_e32 v212, 0x3ee437d1, v123
	v_add_f32_e32 v44, v44, v43
	v_fma_f32 v46, 0x3dbcf732, v25, -v176
	v_add_f32_e32 v45, v166, v45
	v_fmac_f32_e32 v150, 0x3f763a35, v20
	v_add_f32_e32 v43, v126, v42
	v_fma_f32 v42, 0x3dbcf732, v27, -v180
	v_add_f32_e32 v12, v80, v15
	v_fmamk_f32 v15, v27, 0x3f3d2fb0, v211
	v_add_f32_e32 v80, v178, v138
	v_fmamk_f32 v195, v26, 0xbf65296c, v212
	v_mul_f32_e32 v138, 0x3f6eb680, v147
	v_add_f32_e32 v38, v47, v38
	v_add_f32_e32 v44, v46, v44
	v_fma_f32 v46, 0x3f6eb680, v32, -v162
	v_add_f32_e32 v45, v150, v45
	v_fmac_f32_e32 v151, 0x3eb8f4ab, v21
	v_add_f32_e32 v42, v0, v42
	v_fma_f32 v47, 0xbf7ba420, v30, -v182
	v_add_f32_e32 v15, v0, v15
	v_fmamk_f32 v201, v30, 0x3dbcf732, v177
	v_mul_f32_e32 v178, 0xbf4c4adb, v172
	v_add_f32_e32 v80, v195, v80
	v_fmamk_f32 v202, v18, 0xbeb8f4ab, v138
	v_mul_f32_e32 v195, 0x3f6eb680, v104
	v_add_f32_e32 v44, v46, v44
	v_fma_f32 v46, 0xbf1a4643, v33, -v163
	v_add_f32_e32 v45, v151, v45
	v_fmac_f32_e32 v140, 0xbf65296c, v22
	v_add_f32_e32 v47, v47, v42
	v_fma_f32 v48, 0xbe8c1d8e, v31, -v183
	v_add_f32_e32 v203, v201, v15
	v_fmamk_f32 v204, v31, 0xbf1a4643, v178
	v_mul_f32_e32 v104, 0xbe3c28d5, v173
	v_add_f32_e32 v15, v202, v80
	v_fmamk_f32 v80, v29, 0x3eb8f4ab, v195
	v_mul_f32_e32 v201, 0x3f3d2fb0, v109
	v_add_f32_e32 v42, v46, v44
	v_add_f32_e32 v44, v140, v45
	v_fmac_f32_e32 v141, 0xbf06c442, v23
	v_add_f32_e32 v45, v48, v47
	v_fma_f32 v46, 0x3f6eb680, v19, -v189
	v_add_f32_e32 v203, v204, v203
	v_fmamk_f32 v204, v19, 0xbf7ba420, v104
	v_mul_f32_e32 v109, 0x3f06c442, v174
	v_add_f32_e32 v80, v1, v80
	v_fmamk_f32 v213, v28, 0x3f2c7751, v201
	v_mul_f32_e32 v202, 0x3ee437d1, v129
	v_add_f32_e32 v44, v141, v44
	v_fmac_f32_e32 v146, 0x3f4c4adb, v26
	v_add_f32_e32 v45, v46, v45
	v_fma_f32 v46, 0x3ee437d1, v24, -v190
	v_add_f32_e32 v204, v204, v203
	v_fmamk_f32 v214, v24, 0xbf59a7d5, v109
	v_add_f32_e32 v80, v213, v80
	v_fmamk_f32 v213, v20, 0x3f65296c, v202
	v_mul_f32_e32 v203, 0x3dbcf732, v139
	v_fmac_f32_e32 v184, 0xbf65296c, v29
	v_add_f32_e32 v44, v146, v44
	v_fmac_f32_e32 v128, 0x3f2c7751, v18
	v_add_f32_e32 v46, v46, v45
	v_fma_f32 v48, 0xbf59a7d5, v25, -v191
	v_add_f32_e32 v214, v214, v204
	v_add_f32_e32 v80, v213, v80
	v_fmamk_f32 v213, v21, 0x3f7ee86f, v203
	v_mul_f32_e32 v204, 0xbe8c1d8e, v164
	v_add_f32_e32 v47, v1, v184
	v_fmac_f32_e32 v185, 0xbf4c4adb, v28
	v_add_f32_e32 v45, v128, v44
	v_add_f32_e32 v44, v48, v46
	v_fma_f32 v50, 0xbf1a4643, v32, -v158
	v_add_f32_e32 v80, v213, v80
	v_fmamk_f32 v213, v22, 0x3f763a35, v204
	v_mul_f32_e32 v171, 0xbf1a4643, v171
	v_add_f32_e32 v47, v185, v47
	v_fmac_f32_e32 v186, 0x3e3c28d5, v20
	v_add_f32_e32 v44, v50, v44
	v_fma_f32 v50, 0x3f3d2fb0, v33, -v142
	v_add_f32_e32 v80, v213, v80
	v_fmamk_f32 v213, v23, 0x3f4c4adb, v171
	v_mul_f32_e32 v61, 0xbf59a7d5, v123
	v_mul_f32_e32 v64, 0xbf7ee86f, v173
	v_add_f32_e32 v47, v186, v47
	v_fmac_f32_e32 v161, 0x3f763a35, v21
	v_fma_f32 v49, 0x3ee437d1, v27, -v194
	v_fmac_f32_e32 v205, 0xbf2c7751, v29
	v_add_f32_e32 v44, v50, v44
	v_fma_f32 v50, 0x3f3d2fb0, v27, -v211
	v_fmac_f32_e32 v195, 0xbeb8f4ab, v29
	v_fma_f32 v27, 0x3f6eb680, v27, -v69
	v_add_f32_e32 v80, v213, v80
	v_fmamk_f32 v66, v26, 0x3f06c442, v61
	v_fmamk_f32 v68, v19, 0x3dbcf732, v64
	v_mul_f32_e32 v71, 0xbf763a35, v174
	v_mul_f32_e32 v54, 0xbf7ba420, v147
	v_add_f32_e32 v46, v161, v47
	v_add_f32_e32 v47, v0, v49
	v_fma_f32 v48, 0xbf1a4643, v30, -v187
	v_add_f32_e32 v49, v1, v205
	v_fmac_f32_e32 v206, 0xbf7ee86f, v28
	v_add_f32_e32 v29, v0, v50
	v_fma_f32 v50, 0x3dbcf732, v30, -v177
	v_add_f32_e32 v1, v1, v195
	v_fmac_f32_e32 v201, 0xbf2c7751, v28
	v_add_f32_e32 v0, v0, v27
	v_fma_f32 v27, 0x3f3d2fb0, v30, -v167
	v_add_f32_e32 v66, v66, v80
	v_add_f32_e32 v65, v68, v65
	v_fmamk_f32 v67, v24, 0xbe8c1d8e, v71
	v_mul_f32_e32 v68, 0xbf4c4adb, v179
	v_fmamk_f32 v55, v18, 0x3e3c28d5, v54
	v_add_f32_e32 v47, v48, v47
	v_fma_f32 v48, 0xbf7ba420, v31, -v188
	v_add_f32_e32 v49, v206, v49
	v_fmac_f32_e32 v207, 0xbf4c4adb, v20
	v_add_f32_e32 v28, v50, v29
	v_fma_f32 v29, 0xbf1a4643, v31, -v178
	v_add_f32_e32 v1, v201, v1
	v_fmac_f32_e32 v202, 0xbf65296c, v20
	v_add_f32_e32 v0, v27, v0
	v_fma_f32 v20, 0x3ee437d1, v31, -v70
	v_mul_f32_e32 v129, 0x3f763a35, v179
	v_add_f32_e32 v65, v67, v65
	v_fmamk_f32 v67, v25, 0xbf1a4643, v68
	v_add_f32_e32 v17, v55, v66
	v_mul_f32_e32 v55, 0xbf06c442, v193
	v_fmac_f32_e32 v159, 0x3f2c7751, v22
	v_add_f32_e32 v47, v48, v47
	v_fma_f32 v48, 0xbe8c1d8e, v19, -v196
	v_add_f32_e32 v49, v207, v49
	v_fmac_f32_e32 v208, 0xbe3c28d5, v21
	v_add_f32_e32 v27, v29, v28
	v_fma_f32 v28, 0xbf7ba420, v19, -v104
	v_add_f32_e32 v1, v202, v1
	v_fmac_f32_e32 v203, 0xbf7ee86f, v21
	v_add_f32_e32 v0, v20, v0
	v_fma_f32 v19, 0x3dbcf732, v19, -v64
	v_fmamk_f32 v215, v25, 0xbe8c1d8e, v129
	v_mul_f32_e32 v139, 0x3f65296c, v193
	v_add_f32_e32 v65, v67, v65
	v_fmamk_f32 v66, v32, 0xbf59a7d5, v55
	v_mul_f32_e32 v67, 0xbe3c28d5, v192
	v_add_f32_e32 v46, v159, v46
	v_fmac_f32_e32 v154, 0xbeb8f4ab, v23
	v_add_f32_e32 v47, v48, v47
	v_fma_f32 v48, 0x3f3d2fb0, v24, -v197
	v_add_f32_e32 v49, v208, v49
	v_fmac_f32_e32 v209, 0x3f06c442, v22
	v_add_f32_e32 v20, v28, v27
	v_fma_f32 v21, 0xbf59a7d5, v24, -v109
	;; [unrolled: 4-line block ×3, first 2 shown]
	v_add_f32_e32 v214, v215, v214
	v_fmamk_f32 v215, v32, 0x3ee437d1, v139
	v_mul_f32_e32 v164, 0x3eb8f4ab, v192
	v_add_f32_e32 v51, v66, v65
	v_fmamk_f32 v52, v33, 0xbf7ba420, v67
	v_add_f32_e32 v46, v154, v46
	v_fmac_f32_e32 v160, 0xbf7ee86f, v26
	v_add_f32_e32 v47, v48, v47
	v_fma_f32 v48, 0x3f6eb680, v25, -v198
	v_add_f32_e32 v49, v209, v49
	v_fmac_f32_e32 v210, 0x3f763a35, v23
	v_add_f32_e32 v20, v21, v20
	v_fma_f32 v21, 0xbe8c1d8e, v25, -v129
	;; [unrolled: 4-line block ×3, first 2 shown]
	v_add_f32_e32 v214, v215, v214
	v_fmamk_f32 v215, v33, 0x3f6eb680, v164
	v_add_f32_e32 v16, v52, v51
	v_add_f32_e32 v46, v160, v46
	v_fmac_f32_e32 v155, 0xbf06c442, v18
	v_add_f32_e32 v48, v48, v47
	v_fma_f32 v51, 0x3dbcf732, v32, -v199
	v_add_f32_e32 v49, v210, v49
	v_fmac_f32_e32 v212, 0x3f65296c, v26
	v_add_f32_e32 v20, v21, v20
	v_fma_f32 v21, 0x3ee437d1, v32, -v139
	;; [unrolled: 4-line block ×3, first 2 shown]
	v_add_f32_e32 v14, v215, v214
	v_add_f32_e32 v47, v155, v46
	;; [unrolled: 1-line block ×3, first 2 shown]
	v_fma_f32 v48, 0xbf59a7d5, v33, -v200
	v_add_f32_e32 v49, v212, v49
	v_fmac_f32_e32 v138, 0x3eb8f4ab, v18
	v_add_f32_e32 v20, v21, v20
	v_fma_f32 v21, 0x3f6eb680, v33, -v164
	v_add_f32_e32 v22, v61, v1
	v_fmac_f32_e32 v54, 0xbe3c28d5, v18
	v_add_f32_e32 v18, v19, v0
	v_fma_f32 v23, 0xbf7ba420, v33, -v67
	ds_write2_b64 v103, v[38:39], v[16:17] offset1:50
	v_add_nc_u32_e32 v16, 0x800, v103
	ds_write2_b64 v103, v[14:15], v[12:13] offset0:100 offset1:150
	v_add_nc_u32_e32 v12, 0xc00, v103
	v_add_nc_u32_e32 v13, 0x1000, v103
	v_add_f32_e32 v46, v48, v46
	v_add_f32_e32 v1, v138, v49
	;; [unrolled: 1-line block ×5, first 2 shown]
	ds_write2_b64 v103, v[10:11], v[8:9] offset0:200 offset1:250
	ds_write2_b64 v16, v[6:7], v[4:5] offset0:44 offset1:94
	;; [unrolled: 1-line block ×6, first 2 shown]
	ds_write_b64 v103, v[18:19] offset:6400
.LBB0_9:
	s_or_b32 exec_lo, exec_lo, s0
	s_waitcnt lgkmcnt(0)
	s_barrier
	buffer_gl0_inv
	ds_read2_b64 v[0:3], v103 offset1:85
	s_clause 0x2
	buffer_load_dword v4, off, s[20:23], 0
	buffer_load_dword v5, off, s[20:23], 0 offset:4
	buffer_load_dword v26, off, s[20:23], 0 offset:8
	v_add_nc_u32_e32 v9, 0x800, v103
	v_add_nc_u32_e32 v10, 0xc00, v103
	s_mov_b32 s0, 0xace01346
	s_mov_b32 s1, 0x3f534679
	s_mul_i32 s3, s9, 0x2a8
	s_mul_hi_u32 s6, s8, 0x2a8
	s_mul_i32 s2, s8, 0x2a8
	s_add_i32 s6, s6, s3
	s_waitcnt lgkmcnt(0)
	v_mul_f32_e32 v16, v84, v0
	v_mul_f32_e32 v20, v88, v3
	;; [unrolled: 1-line block ×4, first 2 shown]
	v_fma_f32 v1, v83, v1, -v16
	v_fmac_f32_e32 v20, v87, v2
	v_fma_f32 v2, v87, v3, -v17
	v_fmac_f32_e32 v11, v83, v0
	v_cvt_f64_f32_e32 v[18:19], v1
	v_cvt_f64_f32_e32 v[20:21], v20
	;; [unrolled: 1-line block ×4, first 2 shown]
	s_waitcnt vmcnt(2)
	v_mov_b32_e32 v24, v4
	s_waitcnt vmcnt(1)
	ds_read2_b64 v[4:7], v103 offset0:170 offset1:255
	s_waitcnt vmcnt(0)
	v_mad_u64_u32 v[14:15], null, s8, v26, 0
	v_mad_u64_u32 v[12:13], null, s10, v24, 0
	v_mov_b32_e32 v0, v15
	v_mov_b32_e32 v8, v13
	v_mad_u64_u32 v[24:25], null, s11, v24, v[8:9]
	v_mad_u64_u32 v[25:26], null, s9, v26, v[0:1]
	ds_read2_b64 v[0:3], v9 offset0:84 offset1:169
	ds_read2_b64 v[8:11], v10 offset0:126 offset1:211
	s_waitcnt lgkmcnt(2)
	v_mul_f32_e32 v26, v86, v5
	v_mul_f32_e32 v27, v86, v4
	;; [unrolled: 1-line block ×3, first 2 shown]
	v_mov_b32_e32 v13, v24
	v_mul_f32_e32 v29, v94, v6
	v_mov_b32_e32 v15, v25
	v_fmac_f32_e32 v26, v85, v4
	v_fma_f32 v24, v85, v5, -v27
	v_lshlrev_b64 v[4:5], 3, v[12:13]
	v_fmac_f32_e32 v28, v93, v6
	v_fma_f32 v27, v93, v7, -v29
	v_lshlrev_b64 v[6:7], 3, v[14:15]
	v_mul_f64 v[14:15], v[18:19], s[0:1]
	v_mul_f64 v[18:19], v[22:23], s[0:1]
	v_add_co_u32 v4, vcc_lo, s4, v4
	v_add_co_ci_u32_e32 v5, vcc_lo, s5, v5, vcc_lo
	v_cvt_f64_f32_e32 v[22:23], v24
	v_cvt_f64_f32_e32 v[24:25], v28
	v_add_co_u32 v28, vcc_lo, v4, v6
	v_mul_f64 v[12:13], v[16:17], s[0:1]
	v_mul_f64 v[16:17], v[20:21], s[0:1]
	v_cvt_f64_f32_e32 v[20:21], v26
	v_cvt_f64_f32_e32 v[26:27], v27
	v_add_co_ci_u32_e32 v29, vcc_lo, v5, v7, vcc_lo
	s_waitcnt lgkmcnt(1)
	v_mul_f32_e32 v4, v96, v0
	v_add_nc_u32_e32 v5, 0x1000, v103
	v_mul_f32_e32 v32, v96, v1
	s_waitcnt lgkmcnt(0)
	v_mul_f32_e32 v34, v82, v11
	v_add_co_u32 v30, vcc_lo, v28, s2
	v_fma_f32 v33, v95, v1, -v4
	ds_read2_b64 v[4:7], v5 offset0:168 offset1:253
	v_fmac_f32_e32 v32, v95, v0
	v_fmac_f32_e32 v34, v81, v10
	v_mul_f32_e32 v10, v82, v10
	v_add_co_ci_u32_e32 v31, vcc_lo, s6, v29, vcc_lo
	v_mul_f64 v[0:1], v[24:25], s[0:1]
	v_cvt_f64_f32_e32 v[24:25], v33
	v_mul_f32_e32 v33, v90, v8
	v_cvt_f32_f64_e32 v12, v[12:13]
	v_cvt_f32_f64_e32 v13, v[14:15]
	;; [unrolled: 1-line block ×3, first 2 shown]
	v_mul_f64 v[16:17], v[20:21], s[0:1]
	v_mul_f64 v[20:21], v[26:27], s[0:1]
	v_mul_f32_e32 v26, v92, v3
	v_mul_f32_e32 v27, v92, v2
	v_cvt_f32_f64_e32 v15, v[18:19]
	v_mul_f64 v[18:19], v[22:23], s[0:1]
	v_cvt_f64_f32_e32 v[22:23], v32
	v_mul_f32_e32 v32, v90, v9
	s_waitcnt lgkmcnt(0)
	v_mul_f32_e32 v36, v98, v5
	v_mul_f32_e32 v37, v98, v4
	v_fmac_f32_e32 v26, v91, v2
	v_fma_f32 v27, v91, v3, -v27
	v_mul_f32_e32 v38, v100, v7
	v_mul_f32_e32 v39, v100, v6
	v_fmac_f32_e32 v32, v89, v8
	v_fma_f32 v33, v89, v9, -v33
	v_fma_f32 v10, v81, v11, -v10
	v_fmac_f32_e32 v36, v97, v4
	v_fma_f32 v11, v97, v5, -v37
	v_cvt_f64_f32_e32 v[2:3], v26
	v_cvt_f64_f32_e32 v[8:9], v27
	v_fmac_f32_e32 v38, v99, v6
	v_fma_f32 v39, v99, v7, -v39
	v_cvt_f64_f32_e32 v[26:27], v32
	v_cvt_f64_f32_e32 v[32:33], v33
	;; [unrolled: 1-line block ×8, first 2 shown]
	global_store_dwordx2 v[28:29], v[12:13], off
	global_store_dwordx2 v[30:31], v[14:15], off
	v_cvt_f32_f64_e32 v12, v[16:17]
	v_mul_f64 v[14:15], v[22:23], s[0:1]
	v_mul_f64 v[16:17], v[24:25], s[0:1]
	v_cvt_f32_f64_e32 v0, v[0:1]
	v_cvt_f32_f64_e32 v1, v[20:21]
	;; [unrolled: 1-line block ×3, first 2 shown]
	v_add_co_u32 v18, vcc_lo, v30, s2
	v_add_co_ci_u32_e32 v19, vcc_lo, s6, v31, vcc_lo
	v_mul_f64 v[2:3], v[2:3], s[0:1]
	v_mul_f64 v[8:9], v[8:9], s[0:1]
	v_add_co_u32 v30, vcc_lo, v18, s2
	v_mul_f64 v[20:21], v[26:27], s[0:1]
	v_mul_f64 v[22:23], v[32:33], s[0:1]
	;; [unrolled: 1-line block ×8, first 2 shown]
	v_add_co_ci_u32_e32 v31, vcc_lo, s6, v19, vcc_lo
	v_cvt_f32_f64_e32 v14, v[14:15]
	v_cvt_f32_f64_e32 v15, v[16:17]
	v_add_co_u32 v16, vcc_lo, v30, s2
	v_add_co_ci_u32_e32 v17, vcc_lo, s6, v31, vcc_lo
	global_store_dwordx2 v[18:19], v[12:13], off
	global_store_dwordx2 v[30:31], v[0:1], off
	v_cvt_f32_f64_e32 v2, v[2:3]
	v_cvt_f32_f64_e32 v3, v[8:9]
	v_add_co_u32 v8, vcc_lo, v16, s2
	v_add_co_ci_u32_e32 v9, vcc_lo, s6, v17, vcc_lo
	v_cvt_f32_f64_e32 v20, v[20:21]
	v_cvt_f32_f64_e32 v21, v[22:23]
	;; [unrolled: 1-line block ×8, first 2 shown]
	v_add_co_u32 v10, vcc_lo, v8, s2
	v_add_co_ci_u32_e32 v11, vcc_lo, s6, v9, vcc_lo
	global_store_dwordx2 v[16:17], v[14:15], off
	v_add_co_u32 v12, vcc_lo, v10, s2
	v_add_co_ci_u32_e32 v13, vcc_lo, s6, v11, vcc_lo
	v_add_co_u32 v0, vcc_lo, v12, s2
	v_add_co_ci_u32_e32 v1, vcc_lo, s6, v13, vcc_lo
	;; [unrolled: 2-line block ×3, first 2 shown]
	global_store_dwordx2 v[8:9], v[2:3], off
	global_store_dwordx2 v[10:11], v[20:21], off
	;; [unrolled: 1-line block ×5, first 2 shown]
.LBB0_10:
	s_endpgm
	.section	.rodata,"a",@progbits
	.p2align	6, 0x0
	.amdhsa_kernel bluestein_single_back_len850_dim1_sp_op_CI_CI
		.amdhsa_group_segment_fixed_size 6800
		.amdhsa_private_segment_fixed_size 80
		.amdhsa_kernarg_size 104
		.amdhsa_user_sgpr_count 6
		.amdhsa_user_sgpr_private_segment_buffer 1
		.amdhsa_user_sgpr_dispatch_ptr 0
		.amdhsa_user_sgpr_queue_ptr 0
		.amdhsa_user_sgpr_kernarg_segment_ptr 1
		.amdhsa_user_sgpr_dispatch_id 0
		.amdhsa_user_sgpr_flat_scratch_init 0
		.amdhsa_user_sgpr_private_segment_size 0
		.amdhsa_wavefront_size32 1
		.amdhsa_uses_dynamic_stack 0
		.amdhsa_system_sgpr_private_segment_wavefront_offset 1
		.amdhsa_system_sgpr_workgroup_id_x 1
		.amdhsa_system_sgpr_workgroup_id_y 0
		.amdhsa_system_sgpr_workgroup_id_z 0
		.amdhsa_system_sgpr_workgroup_info 0
		.amdhsa_system_vgpr_workitem_id 0
		.amdhsa_next_free_vgpr 256
		.amdhsa_next_free_sgpr 24
		.amdhsa_reserve_vcc 1
		.amdhsa_reserve_flat_scratch 0
		.amdhsa_float_round_mode_32 0
		.amdhsa_float_round_mode_16_64 0
		.amdhsa_float_denorm_mode_32 3
		.amdhsa_float_denorm_mode_16_64 3
		.amdhsa_dx10_clamp 1
		.amdhsa_ieee_mode 1
		.amdhsa_fp16_overflow 0
		.amdhsa_workgroup_processor_mode 1
		.amdhsa_memory_ordered 1
		.amdhsa_forward_progress 0
		.amdhsa_shared_vgpr_count 0
		.amdhsa_exception_fp_ieee_invalid_op 0
		.amdhsa_exception_fp_denorm_src 0
		.amdhsa_exception_fp_ieee_div_zero 0
		.amdhsa_exception_fp_ieee_overflow 0
		.amdhsa_exception_fp_ieee_underflow 0
		.amdhsa_exception_fp_ieee_inexact 0
		.amdhsa_exception_int_div_zero 0
	.end_amdhsa_kernel
	.text
.Lfunc_end0:
	.size	bluestein_single_back_len850_dim1_sp_op_CI_CI, .Lfunc_end0-bluestein_single_back_len850_dim1_sp_op_CI_CI
                                        ; -- End function
	.section	.AMDGPU.csdata,"",@progbits
; Kernel info:
; codeLenInByte = 17828
; NumSgprs: 26
; NumVgprs: 256
; ScratchSize: 80
; MemoryBound: 0
; FloatMode: 240
; IeeeMode: 1
; LDSByteSize: 6800 bytes/workgroup (compile time only)
; SGPRBlocks: 3
; VGPRBlocks: 31
; NumSGPRsForWavesPerEU: 26
; NumVGPRsForWavesPerEU: 256
; Occupancy: 4
; WaveLimiterHint : 1
; COMPUTE_PGM_RSRC2:SCRATCH_EN: 1
; COMPUTE_PGM_RSRC2:USER_SGPR: 6
; COMPUTE_PGM_RSRC2:TRAP_HANDLER: 0
; COMPUTE_PGM_RSRC2:TGID_X_EN: 1
; COMPUTE_PGM_RSRC2:TGID_Y_EN: 0
; COMPUTE_PGM_RSRC2:TGID_Z_EN: 0
; COMPUTE_PGM_RSRC2:TIDIG_COMP_CNT: 0
	.text
	.p2alignl 6, 3214868480
	.fill 48, 4, 3214868480
	.type	__hip_cuid_1af303db83f6a70,@object ; @__hip_cuid_1af303db83f6a70
	.section	.bss,"aw",@nobits
	.globl	__hip_cuid_1af303db83f6a70
__hip_cuid_1af303db83f6a70:
	.byte	0                               ; 0x0
	.size	__hip_cuid_1af303db83f6a70, 1

	.ident	"AMD clang version 19.0.0git (https://github.com/RadeonOpenCompute/llvm-project roc-6.4.0 25133 c7fe45cf4b819c5991fe208aaa96edf142730f1d)"
	.section	".note.GNU-stack","",@progbits
	.addrsig
	.addrsig_sym __hip_cuid_1af303db83f6a70
	.amdgpu_metadata
---
amdhsa.kernels:
  - .args:
      - .actual_access:  read_only
        .address_space:  global
        .offset:         0
        .size:           8
        .value_kind:     global_buffer
      - .actual_access:  read_only
        .address_space:  global
        .offset:         8
        .size:           8
        .value_kind:     global_buffer
      - .actual_access:  read_only
        .address_space:  global
        .offset:         16
        .size:           8
        .value_kind:     global_buffer
      - .actual_access:  read_only
        .address_space:  global
        .offset:         24
        .size:           8
        .value_kind:     global_buffer
      - .actual_access:  read_only
        .address_space:  global
        .offset:         32
        .size:           8
        .value_kind:     global_buffer
      - .offset:         40
        .size:           8
        .value_kind:     by_value
      - .address_space:  global
        .offset:         48
        .size:           8
        .value_kind:     global_buffer
      - .address_space:  global
        .offset:         56
        .size:           8
        .value_kind:     global_buffer
      - .address_space:  global
        .offset:         64
        .size:           8
        .value_kind:     global_buffer
      - .address_space:  global
        .offset:         72
        .size:           8
        .value_kind:     global_buffer
      - .offset:         80
        .size:           4
        .value_kind:     by_value
      - .address_space:  global
        .offset:         88
        .size:           8
        .value_kind:     global_buffer
      - .address_space:  global
        .offset:         96
        .size:           8
        .value_kind:     global_buffer
    .group_segment_fixed_size: 6800
    .kernarg_segment_align: 8
    .kernarg_segment_size: 104
    .language:       OpenCL C
    .language_version:
      - 2
      - 0
    .max_flat_workgroup_size: 85
    .name:           bluestein_single_back_len850_dim1_sp_op_CI_CI
    .private_segment_fixed_size: 80
    .sgpr_count:     26
    .sgpr_spill_count: 0
    .symbol:         bluestein_single_back_len850_dim1_sp_op_CI_CI.kd
    .uniform_work_group_size: 1
    .uses_dynamic_stack: false
    .vgpr_count:     256
    .vgpr_spill_count: 19
    .wavefront_size: 32
    .workgroup_processor_mode: 1
amdhsa.target:   amdgcn-amd-amdhsa--gfx1030
amdhsa.version:
  - 1
  - 2
...

	.end_amdgpu_metadata
